;; amdgpu-corpus repo=ROCm/rocFFT kind=compiled arch=gfx1201 opt=O3
	.text
	.amdgcn_target "amdgcn-amd-amdhsa--gfx1201"
	.amdhsa_code_object_version 6
	.protected	bluestein_single_back_len2250_dim1_sp_op_CI_CI ; -- Begin function bluestein_single_back_len2250_dim1_sp_op_CI_CI
	.globl	bluestein_single_back_len2250_dim1_sp_op_CI_CI
	.p2align	8
	.type	bluestein_single_back_len2250_dim1_sp_op_CI_CI,@function
bluestein_single_back_len2250_dim1_sp_op_CI_CI: ; @bluestein_single_back_len2250_dim1_sp_op_CI_CI
; %bb.0:
	s_load_b128 s[8:11], s[0:1], 0x28
	v_mul_u32_u24_e32 v1, 0x2d9, v0
	s_mov_b32 s2, exec_lo
	v_mov_b32_e32 v5, 0
	s_delay_alu instid0(VALU_DEP_2) | instskip(NEXT) | instid1(VALU_DEP_1)
	v_lshrrev_b32_e32 v1, 16, v1
	v_add_nc_u32_e32 v4, ttmp9, v1
	s_wait_kmcnt 0x0
	s_delay_alu instid0(VALU_DEP_1)
	v_cmpx_gt_u64_e64 s[8:9], v[4:5]
	s_cbranch_execz .LBB0_31
; %bb.1:
	s_clause 0x1
	s_load_b128 s[4:7], s[0:1], 0x18
	s_load_b64 s[16:17], s[0:1], 0x0
	v_mul_lo_u16 v1, 0x5a, v1
	s_movk_i32 s2, 0xf871
	s_mov_b32 s3, -1
	v_mov_b32_e32 v5, v4
	s_delay_alu instid0(VALU_DEP_2) | instskip(NEXT) | instid1(VALU_DEP_1)
	v_sub_nc_u16 v46, v0, v1
	v_and_b32_e32 v234, 0xffff, v46
	s_delay_alu instid0(VALU_DEP_1)
	v_lshlrev_b32_e32 v255, 3, v234
	s_wait_kmcnt 0x0
	s_load_b128 s[12:15], s[4:5], 0x0
	s_clause 0x2
	global_load_b64 v[251:252], v255, s[16:17]
	global_load_b64 v[81:82], v255, s[16:17] offset:3600
	global_load_b64 v[79:80], v255, s[16:17] offset:7200
	scratch_store_b64 off, v[5:6], off offset:72 ; 8-byte Folded Spill
	s_clause 0xa
	global_load_b64 v[77:78], v255, s[16:17] offset:9000
	global_load_b64 v[75:76], v255, s[16:17] offset:10800
	;; [unrolled: 1-line block ×11, first 2 shown]
	s_wait_kmcnt 0x0
	v_mad_co_u64_u32 v[0:1], null, s14, v4, 0
	v_mad_co_u64_u32 v[2:3], null, s12, v234, 0
	s_mul_u64 s[4:5], s[12:13], 0xe1
	s_mul_u64 s[2:3], s[12:13], s[2:3]
	s_delay_alu instid0(SALU_CYCLE_1) | instskip(NEXT) | instid1(VALU_DEP_1)
	s_lshl_b64 s[2:3], s[2:3], 3
	v_mad_co_u64_u32 v[4:5], null, s15, v4, v[1:2]
	s_delay_alu instid0(VALU_DEP_1) | instskip(SKIP_1) | instid1(VALU_DEP_1)
	v_mad_co_u64_u32 v[5:6], null, s13, v234, v[3:4]
	v_mov_b32_e32 v1, v4
	v_lshlrev_b64_e32 v[0:1], 3, v[0:1]
	s_delay_alu instid0(VALU_DEP_3) | instskip(NEXT) | instid1(VALU_DEP_2)
	v_mov_b32_e32 v3, v5
	v_add_co_u32 v0, vcc_lo, s10, v0
	s_delay_alu instid0(VALU_DEP_2) | instskip(NEXT) | instid1(VALU_DEP_4)
	v_lshlrev_b64_e32 v[2:3], 3, v[2:3]
	v_add_co_ci_u32_e32 v1, vcc_lo, s11, v1, vcc_lo
	s_lshl_b64 s[10:11], s[4:5], 3
	s_delay_alu instid0(VALU_DEP_2) | instskip(SKIP_1) | instid1(VALU_DEP_2)
	v_add_co_u32 v0, vcc_lo, v0, v2
	s_wait_alu 0xfffd
	v_add_co_ci_u32_e32 v1, vcc_lo, v1, v3, vcc_lo
	s_wait_alu 0xfffe
	s_delay_alu instid0(VALU_DEP_2)
	v_add_co_u32 v2, vcc_lo, v0, s10
	global_load_b64 v[6:7], v[0:1], off
	s_wait_alu 0xfffd
	v_add_co_ci_u32_e32 v3, vcc_lo, s11, v1, vcc_lo
	v_add_co_u32 v4, vcc_lo, v2, s10
	s_wait_alu 0xfffd
	s_delay_alu instid0(VALU_DEP_2) | instskip(NEXT) | instid1(VALU_DEP_2)
	v_add_co_ci_u32_e32 v5, vcc_lo, s11, v3, vcc_lo
	v_add_co_u32 v0, vcc_lo, v4, s10
	s_wait_alu 0xfffd
	s_delay_alu instid0(VALU_DEP_2) | instskip(NEXT) | instid1(VALU_DEP_2)
	v_add_co_ci_u32_e32 v1, vcc_lo, s11, v5, vcc_lo
	v_add_co_u32 v8, vcc_lo, v0, s10
	s_clause 0x2
	global_load_b64 v[2:3], v[2:3], off
	global_load_b64 v[4:5], v[4:5], off
	;; [unrolled: 1-line block ×3, first 2 shown]
	s_wait_alu 0xfffd
	v_add_co_ci_u32_e32 v9, vcc_lo, s11, v1, vcc_lo
	v_add_co_u32 v0, vcc_lo, v8, s10
	s_wait_alu 0xfffd
	s_delay_alu instid0(VALU_DEP_2) | instskip(NEXT) | instid1(VALU_DEP_2)
	v_add_co_ci_u32_e32 v1, vcc_lo, s11, v9, vcc_lo
	v_add_co_u32 v12, vcc_lo, v0, s10
	global_load_b64 v[8:9], v[8:9], off
	s_wait_alu 0xfffd
	v_add_co_ci_u32_e32 v13, vcc_lo, s11, v1, vcc_lo
	global_load_b64 v[14:15], v[0:1], off
	v_add_co_u32 v0, vcc_lo, v12, s10
	s_wait_alu 0xfffd
	v_add_co_ci_u32_e32 v1, vcc_lo, s11, v13, vcc_lo
	global_load_b64 v[12:13], v[12:13], off
	v_add_co_u32 v16, vcc_lo, v0, s10
	;; [unrolled: 4-line block ×4, first 2 shown]
	s_wait_alu 0xfffd
	v_add_co_ci_u32_e32 v21, vcc_lo, s3, v1, vcc_lo
	s_wait_loadcnt 0x8
	v_mul_f32_e32 v42, v7, v252
	s_clause 0x2
	global_load_b64 v[55:56], v255, s[16:17] offset:9720
	global_load_b64 v[67:68], v255, s[16:17] offset:7920
	;; [unrolled: 1-line block ×3, first 2 shown]
	global_load_b64 v[22:23], v[0:1], off
	global_load_b64 v[24:25], v[20:21], off
	v_add_co_u32 v0, vcc_lo, v20, s10
	s_wait_alu 0xfffd
	v_add_co_ci_u32_e32 v1, vcc_lo, s11, v21, vcc_lo
	v_fmac_f32_e32 v42, v6, v251
	s_delay_alu instid0(VALU_DEP_3) | instskip(SKIP_1) | instid1(VALU_DEP_3)
	v_add_co_u32 v20, vcc_lo, v0, s10
	s_wait_alu 0xfffd
	v_add_co_ci_u32_e32 v21, vcc_lo, s11, v1, vcc_lo
	global_load_b64 v[26:27], v[0:1], off
	v_add_co_u32 v0, vcc_lo, v20, s10
	s_wait_alu 0xfffd
	v_add_co_ci_u32_e32 v1, vcc_lo, s11, v21, vcc_lo
	global_load_b64 v[20:21], v[20:21], off
	;; [unrolled: 4-line block ×5, first 2 shown]
	v_add_co_u32 v0, vcc_lo, v32, s10
	s_wait_alu 0xfffd
	v_add_co_ci_u32_e32 v1, vcc_lo, s11, v33, vcc_lo
	global_load_b64 v[65:66], v255, s[16:17] offset:11520
	v_add_co_u32 v36, vcc_lo, v0, s10
	s_wait_alu 0xfffd
	v_add_co_ci_u32_e32 v37, vcc_lo, s11, v1, vcc_lo
	global_load_b64 v[38:39], v[0:1], off
	v_add_co_u32 v0, vcc_lo, v36, s10
	global_load_b64 v[32:33], v[32:33], off
	s_wait_alu 0xfffd
	v_add_co_ci_u32_e32 v1, vcc_lo, s11, v37, vcc_lo
	s_clause 0x1
	global_load_b64 v[61:62], v255, s[16:17] offset:16920
	global_load_b64 v[63:64], v255, s[16:17] offset:15120
	global_load_b64 v[36:37], v[36:37], off
	global_load_b64 v[40:41], v[0:1], off
	s_wait_loadcnt 0x17
	v_dual_mul_f32 v43, v6, v252 :: v_dual_mul_f32 v6, v5, v82
	v_mul_f32_e32 v44, v3, v254
	v_mul_f32_e32 v45, v2, v254
	s_wait_loadcnt 0x15
	v_dual_mul_f32 v47, v10, v217 :: v_dual_mul_f32 v48, v8, v80
	v_fmac_f32_e32 v6, v4, v81
	v_fmac_f32_e32 v44, v2, v253
	v_fma_f32 v45, v3, v253, -v45
	v_dual_mul_f32 v3, v4, v82 :: v_dual_mul_f32 v2, v11, v217
	v_mul_f32_e32 v4, v9, v80
	v_fma_f32 v43, v7, v251, -v43
	s_load_b64 s[8:9], s[0:1], 0x38
	s_load_b128 s[4:7], s[6:7], 0x0
	v_fma_f32 v7, v5, v81, -v3
	v_fma_f32 v3, v11, v216, -v47
	;; [unrolled: 1-line block ×3, first 2 shown]
	s_wait_loadcnt 0x14
	v_mul_f32_e32 v9, v14, v78
	v_fmac_f32_e32 v2, v10, v216
	v_fmac_f32_e32 v4, v8, v79
	s_clause 0x1
	scratch_store_b64 off, v[81:82], off offset:136
	scratch_store_b64 off, v[79:80], off offset:128
	v_mul_f32_e32 v8, v15, v78
	ds_store_b64 v255, v[44:45] offset:1800
	ds_store_b64 v255, v[6:7] offset:3600
	;; [unrolled: 1-line block ×4, first 2 shown]
	s_wait_loadcnt 0x13
	v_mul_f32_e32 v3, v12, v76
	s_wait_loadcnt 0x11
	v_dual_mul_f32 v5, v18, v74 :: v_dual_mul_f32 v6, v16, v72
	v_mul_f32_e32 v10, v13, v76
	v_mul_f32_e32 v2, v19, v74
	v_fma_f32 v11, v13, v75, -v3
	s_delay_alu instid0(VALU_DEP_4)
	v_fma_f32 v3, v19, v73, -v5
	v_fma_f32 v5, v17, v71, -v6
	v_mul_f32_e32 v4, v17, v72
	v_fmac_f32_e32 v8, v14, v77
	v_fma_f32 v9, v15, v77, -v9
	v_fmac_f32_e32 v10, v12, v75
	v_fmac_f32_e32 v2, v18, v73
	v_fmac_f32_e32 v4, v16, v71
	s_clause 0x3
	scratch_store_b64 off, v[77:78], off offset:120
	scratch_store_b64 off, v[75:76], off offset:112
	;; [unrolled: 1-line block ×4, first 2 shown]
	v_add_co_u32 v214, s12, s16, v255
	s_wait_alu 0xf1ff
	v_add_co_ci_u32_e64 v215, null, s17, 0, s12
	v_cmp_gt_u16_e32 vcc_lo, 45, v46
	s_wait_loadcnt 0xd
	v_mul_f32_e32 v6, v23, v70
	s_wait_loadcnt 0xc
	v_dual_mul_f32 v7, v22, v70 :: v_dual_mul_f32 v12, v25, v60
	v_mul_f32_e32 v13, v24, v60
	ds_store_b64 v255, v[8:9] offset:9000
	ds_store_b64 v255, v[10:11] offset:10800
	;; [unrolled: 1-line block ×4, first 2 shown]
	v_fmac_f32_e32 v6, v22, v69
	v_fma_f32 v7, v23, v69, -v7
	v_fmac_f32_e32 v12, v24, v59
	v_fma_f32 v13, v25, v59, -v13
	s_clause 0x1
	scratch_store_b64 off, v[69:70], off offset:88
	scratch_store_b64 off, v[67:68], off offset:80
	s_wait_loadcnt 0xb
	v_mul_f32_e32 v2, v27, v58
	v_mul_f32_e32 v3, v26, v58
	ds_store_b64 v255, v[6:7] offset:16200
	s_clause 0x3
	scratch_store_b64 off, v[59:60], off offset:40
	scratch_store_b64 off, v[57:58], off offset:32
	;; [unrolled: 1-line block ×4, first 2 shown]
	s_wait_loadcnt 0xa
	v_mul_f32_e32 v4, v21, v54
	v_dual_mul_f32 v5, v20, v54 :: v_dual_fmac_f32 v2, v26, v57
	s_wait_loadcnt 0x9
	v_mul_f32_e32 v6, v31, v52
	v_mul_f32_e32 v7, v30, v52
	v_fma_f32 v3, v27, v57, -v3
	v_fmac_f32_e32 v4, v20, v53
	v_fma_f32 v5, v21, v53, -v5
	s_wait_loadcnt 0x8
	v_mul_f32_e32 v8, v29, v68
	v_dual_mul_f32 v9, v28, v68 :: v_dual_fmac_f32 v6, v30, v51
	v_fma_f32 v7, v31, v51, -v7
	ds_store_2addr_b64 v255, v[42:43], v[12:13] offset1:90
	v_fmac_f32_e32 v8, v28, v67
	v_fma_f32 v9, v29, v67, -v9
	s_wait_loadcnt 0x7
	v_mul_f32_e32 v10, v35, v56
	v_mul_f32_e32 v11, v34, v56
	ds_store_b64 v255, v[2:3] offset:2520
	ds_store_b64 v255, v[4:5] offset:4320
	;; [unrolled: 1-line block ×4, first 2 shown]
	scratch_store_b64 off, v[55:56], off offset:24 ; 8-byte Folded Spill
	s_wait_loadcnt 0x6
	scratch_store_b64 off, v[65:66], off offset:64 ; 8-byte Folded Spill
	v_fmac_f32_e32 v10, v34, v55
	v_fma_f32 v11, v35, v55, -v11
	scratch_store_b64 off, v[49:50], off    ; 8-byte Folded Spill
	s_wait_loadcnt 0x5
	v_mul_f32_e32 v4, v39, v50
	v_mul_f32_e32 v5, v38, v50
	s_wait_loadcnt 0x3
	scratch_store_b64 off, v[61:62], off offset:48 ; 8-byte Folded Spill
	v_mul_f32_e32 v2, v33, v66
	s_wait_loadcnt 0x1
	v_dual_mul_f32 v3, v32, v66 :: v_dual_mul_f32 v6, v37, v64
	s_wait_loadcnt 0x0
	v_dual_mul_f32 v7, v36, v64 :: v_dual_mul_f32 v8, v41, v62
	v_mul_f32_e32 v9, v40, v62
	v_fmac_f32_e32 v2, v32, v65
	v_fma_f32 v3, v33, v65, -v3
	v_fmac_f32_e32 v4, v38, v49
	v_fma_f32 v5, v39, v49, -v5
	;; [unrolled: 2-line block ×4, first 2 shown]
	scratch_store_b64 off, v[63:64], off offset:56 ; 8-byte Folded Spill
	ds_store_b64 v255, v[10:11] offset:9720
	ds_store_b64 v255, v[2:3] offset:11520
	;; [unrolled: 1-line block ×5, first 2 shown]
	s_and_saveexec_b32 s12, vcc_lo
	s_cbranch_execz .LBB0_3
; %bb.2:
	v_add_co_u32 v0, s2, v0, s2
	s_wait_alu 0xf1ff
	v_add_co_ci_u32_e64 v1, s2, s3, v1, s2
	s_delay_alu instid0(VALU_DEP_2) | instskip(SKIP_1) | instid1(VALU_DEP_2)
	v_add_co_u32 v2, s2, v0, s10
	s_wait_alu 0xf1ff
	v_add_co_ci_u32_e64 v3, s2, s11, v1, s2
	s_delay_alu instid0(VALU_DEP_2) | instskip(SKIP_1) | instid1(VALU_DEP_2)
	;; [unrolled: 4-line block ×3, first 2 shown]
	v_add_co_u32 v6, s2, v4, s10
	s_wait_alu 0xf1ff
	v_add_co_ci_u32_e64 v7, s2, s11, v5, s2
	global_load_b64 v[0:1], v[0:1], off
	global_load_b64 v[2:3], v[2:3], off
	;; [unrolled: 1-line block ×4, first 2 shown]
	v_add_co_u32 v6, s2, v6, s10
	s_wait_alu 0xf1ff
	v_add_co_ci_u32_e64 v7, s2, s11, v7, s2
	s_clause 0x3
	global_load_b64 v[10:11], v[214:215], off offset:1440
	global_load_b64 v[12:13], v[214:215], off offset:3240
	;; [unrolled: 1-line block ×4, first 2 shown]
	v_add_co_u32 v18, s2, v6, s10
	s_wait_alu 0xf1ff
	v_add_co_ci_u32_e64 v19, s2, s11, v7, s2
	global_load_b64 v[6:7], v[6:7], off
	v_add_co_u32 v20, s2, v18, s10
	s_wait_alu 0xf1ff
	v_add_co_ci_u32_e64 v21, s2, s11, v19, s2
	global_load_b64 v[22:23], v[214:215], off offset:8640
	v_add_co_u32 v24, s2, v20, s10
	s_wait_alu 0xf1ff
	v_add_co_ci_u32_e64 v25, s2, s11, v21, s2
	global_load_b64 v[18:19], v[18:19], off
	global_load_b64 v[20:21], v[20:21], off
	s_clause 0x1
	global_load_b64 v[26:27], v[214:215], off offset:10440
	global_load_b64 v[28:29], v[214:215], off offset:12240
	global_load_b64 v[30:31], v[24:25], off
	v_add_co_u32 v24, s2, v24, s10
	s_wait_alu 0xf1ff
	v_add_co_ci_u32_e64 v25, s2, s11, v25, s2
	global_load_b64 v[32:33], v[214:215], off offset:14040
	v_add_co_u32 v34, s2, v24, s10
	s_wait_alu 0xf1ff
	v_add_co_ci_u32_e64 v35, s2, s11, v25, s2
	global_load_b64 v[24:25], v[24:25], off
	s_clause 0x1
	global_load_b64 v[36:37], v[214:215], off offset:15840
	global_load_b64 v[38:39], v[214:215], off offset:17640
	global_load_b64 v[34:35], v[34:35], off
	v_add_nc_u32_e32 v42, 0x500, v255
	v_add_nc_u32_e32 v44, 0x2100, v255
	s_wait_loadcnt 0xf
	v_mul_f32_e32 v40, v1, v11
	v_mul_f32_e32 v41, v0, v11
	s_wait_loadcnt 0xe
	v_mul_f32_e32 v11, v3, v13
	v_mul_f32_e32 v13, v2, v13
	s_wait_loadcnt 0xc
	s_delay_alu instid0(VALU_DEP_2)
	v_dual_fmac_f32 v11, v2, v12 :: v_dual_mul_f32 v2, v9, v17
	v_dual_fmac_f32 v40, v0, v10 :: v_dual_add_nc_u32 v43, 0x1300, v255
	v_mul_f32_e32 v0, v5, v15
	v_fma_f32 v41, v1, v10, -v41
	v_fma_f32 v12, v3, v12, -v13
	v_mul_f32_e32 v3, v8, v17
	s_delay_alu instid0(VALU_DEP_4)
	v_dual_fmac_f32 v0, v4, v14 :: v_dual_add_nc_u32 v45, 0x2f00, v255
	v_mul_f32_e32 v1, v4, v15
	s_wait_loadcnt 0xa
	v_mul_f32_e32 v4, v7, v23
	v_fma_f32 v3, v9, v16, -v3
	s_wait_loadcnt 0x6
	v_mul_f32_e32 v9, v20, v29
	v_fmac_f32_e32 v2, v8, v16
	v_mul_f32_e32 v8, v21, v29
	v_fmac_f32_e32 v4, v6, v22
	v_fma_f32 v1, v5, v14, -v1
	v_mul_f32_e32 v5, v6, v23
	s_wait_loadcnt 0x4
	v_dual_mul_f32 v13, v31, v33 :: v_dual_fmac_f32 v8, v20, v28
	v_mul_f32_e32 v6, v19, v27
	s_wait_loadcnt 0x0
	v_dual_mul_f32 v10, v30, v33 :: v_dual_mul_f32 v17, v35, v39
	v_fma_f32 v5, v7, v22, -v5
	v_mul_f32_e32 v7, v18, v27
	v_fmac_f32_e32 v13, v30, v32
	v_dual_fmac_f32 v6, v18, v26 :: v_dual_mul_f32 v15, v25, v37
	v_dual_mul_f32 v16, v24, v37 :: v_dual_fmac_f32 v17, v34, v38
	v_mul_f32_e32 v18, v34, v39
	v_fma_f32 v7, v19, v26, -v7
	s_delay_alu instid0(VALU_DEP_4)
	v_fmac_f32_e32 v15, v24, v36
	v_fma_f32 v9, v21, v28, -v9
	v_fma_f32 v14, v31, v32, -v10
	;; [unrolled: 1-line block ×4, first 2 shown]
	v_add_nc_u32_e32 v10, 0x3d00, v255
	ds_store_2addr_b64 v42, v[40:41], v[11:12] offset0:20 offset1:245
	ds_store_2addr_b64 v43, v[0:1], v[2:3] offset0:22 offset1:247
	;; [unrolled: 1-line block ×5, first 2 shown]
.LBB0_3:
	s_wait_alu 0xfffe
	s_or_b32 exec_lo, exec_lo, s12
	v_add_nc_u32_e32 v0, 0x400, v255
	v_add_nc_u32_e32 v1, 0xc00, v255
	;; [unrolled: 1-line block ×4, first 2 shown]
	global_wb scope:SCOPE_SE
	s_wait_storecnt_dscnt 0x0
	s_wait_kmcnt 0x0
	s_barrier_signal -1
	s_barrier_wait -1
	global_inv scope:SCOPE_SE
	ds_load_2addr_b64 v[20:23], v255 offset1:90
	ds_load_2addr_b64 v[24:27], v0 offset0:97 offset1:187
	ds_load_2addr_b64 v[60:63], v1 offset0:66 offset1:156
	;; [unrolled: 1-line block ×4, first 2 shown]
	v_add_nc_u32_e32 v0, 0x2000, v255
	v_add_nc_u32_e32 v1, 0x2800, v255
	;; [unrolled: 1-line block ×5, first 2 shown]
	ds_load_2addr_b64 v[54:57], v0 offset0:101 offset1:191
	ds_load_2addr_b64 v[68:71], v1 offset0:70 offset1:160
	;; [unrolled: 1-line block ×5, first 2 shown]
                                        ; implicit-def: $vgpr0
                                        ; implicit-def: $vgpr4
                                        ; implicit-def: $vgpr12
                                        ; implicit-def: $vgpr16
                                        ; implicit-def: $vgpr8
	s_and_saveexec_b32 s2, vcc_lo
	s_cbranch_execz .LBB0_5
; %bb.4:
	v_add_nc_u32_e32 v0, 0x500, v255
	v_add_nc_u32_e32 v4, 0x1300, v255
	v_add_nc_u32_e32 v8, 0x2100, v255
	v_add_nc_u32_e32 v9, 0x2f00, v255
	v_add_nc_u32_e32 v10, 0x3d00, v255
	ds_load_2addr_b64 v[0:3], v0 offset0:20 offset1:245
	ds_load_2addr_b64 v[4:7], v4 offset0:22 offset1:247
	;; [unrolled: 1-line block ×5, first 2 shown]
.LBB0_5:
	s_wait_alu 0xfffe
	s_or_b32 exec_lo, exec_lo, s2
	s_wait_dscnt 0x3
	v_dual_add_f32 v32, v64, v68 :: v_dual_sub_f32 v35, v65, v69
	s_wait_dscnt 0x1
	v_dual_add_f32 v33, v20, v60 :: v_dual_sub_f32 v34, v61, v73
	s_load_b64 s[2:3], s[0:1], 0x8
	s_delay_alu instid0(VALU_DEP_2) | instskip(SKIP_3) | instid1(VALU_DEP_4)
	v_fma_f32 v46, -0.5, v32, v20
	v_sub_f32_e32 v32, v60, v64
	v_add_f32_e32 v37, v60, v72
	v_add_co_u32 v171, s0, 0x5a, v234
	v_fmamk_f32 v47, v34, 0x3f737871, v46
	v_fmac_f32_e32 v46, 0xbf737871, v34
	v_sub_f32_e32 v36, v72, v68
	v_add_f32_e32 v33, v33, v64
	v_fma_f32 v20, -0.5, v37, v20
	v_fmac_f32_e32 v47, 0x3f167918, v35
	v_fmac_f32_e32 v46, 0xbf167918, v35
	v_add_f32_e32 v32, v32, v36
	v_add_f32_e32 v33, v33, v68
	s_wait_alu 0xf1ff
	v_add_co_ci_u32_e64 v96, null, 0, 0, s0
	v_add_co_u32 v170, s0, 0xb4, v234
	s_wait_alu 0xf1ff
	v_add_co_ci_u32_e64 v36, null, 0, 0, s0
	v_fmamk_f32 v51, v35, 0xbf737871, v20
	v_fmac_f32_e32 v20, 0x3f737871, v35
	v_add_f32_e32 v50, v33, v72
	v_dual_fmac_f32 v47, 0x3e9e377a, v32 :: v_dual_add_f32 v48, v65, v69
	s_delay_alu instid0(VALU_DEP_3) | instskip(SKIP_1) | instid1(VALU_DEP_3)
	v_dual_sub_f32 v33, v64, v60 :: v_dual_fmac_f32 v20, 0xbf167918, v34
	v_dual_sub_f32 v36, v68, v72 :: v_dual_add_f32 v37, v21, v61
	v_fma_f32 v76, -0.5, v48, v21
	v_dual_fmac_f32 v51, 0x3f167918, v34 :: v_dual_add_f32 v34, v61, v73
	v_sub_f32_e32 v48, v73, v69
	s_delay_alu instid0(VALU_DEP_4) | instskip(SKIP_3) | instid1(VALU_DEP_4)
	v_add_f32_e32 v35, v37, v65
	v_add_f32_e32 v33, v33, v36
	v_sub_f32_e32 v36, v60, v72
	v_dual_fmac_f32 v46, 0x3e9e377a, v32 :: v_dual_sub_f32 v37, v61, v65
	v_dual_add_f32 v32, v35, v69 :: v_dual_sub_f32 v35, v64, v68
	s_delay_alu instid0(VALU_DEP_3) | instskip(SKIP_2) | instid1(VALU_DEP_4)
	v_fmamk_f32 v53, v36, 0xbf737871, v76
	v_fma_f32 v21, -0.5, v34, v21
	v_fmac_f32_e32 v51, 0x3e9e377a, v33
	v_dual_fmac_f32 v76, 0x3f737871, v36 :: v_dual_add_f32 v59, v32, v73
	s_delay_alu instid0(VALU_DEP_4)
	v_dual_add_f32 v32, v37, v48 :: v_dual_fmac_f32 v53, 0xbf167918, v35
	v_sub_f32_e32 v34, v69, v73
	v_fmac_f32_e32 v20, 0x3e9e377a, v33
	v_dual_fmamk_f32 v64, v35, 0x3f737871, v21 :: v_dual_sub_f32 v33, v65, v61
	v_dual_add_f32 v37, v24, v38 :: v_dual_fmac_f32 v76, 0x3f167918, v35
	v_fmac_f32_e32 v21, 0xbf737871, v35
	s_delay_alu instid0(VALU_DEP_3) | instskip(NEXT) | instid1(VALU_DEP_3)
	v_dual_fmac_f32 v64, 0xbf167918, v36 :: v_dual_add_f32 v33, v33, v34
	v_add_f32_e32 v34, v37, v54
	s_delay_alu instid0(VALU_DEP_4) | instskip(SKIP_1) | instid1(VALU_DEP_3)
	v_dual_add_f32 v35, v54, v42 :: v_dual_fmac_f32 v76, 0x3e9e377a, v32
	v_fmac_f32_e32 v53, 0x3e9e377a, v32
	v_dual_fmac_f32 v21, 0x3f167918, v36 :: v_dual_add_f32 v32, v34, v42
	s_delay_alu instid0(VALU_DEP_3)
	v_fma_f32 v35, -0.5, v35, v24
	s_wait_dscnt 0x0
	v_add_f32_e32 v34, v38, v28
	v_dual_sub_f32 v36, v39, v29 :: v_dual_sub_f32 v49, v54, v38
	v_dual_fmac_f32 v64, 0x3e9e377a, v33 :: v_dual_sub_f32 v37, v28, v42
	v_fmac_f32_e32 v21, 0x3e9e377a, v33
	s_delay_alu instid0(VALU_DEP_4) | instskip(NEXT) | instid1(VALU_DEP_4)
	v_fma_f32 v24, -0.5, v34, v24
	v_dual_fmamk_f32 v33, v36, 0x3f737871, v35 :: v_dual_sub_f32 v34, v38, v54
	v_fmac_f32_e32 v35, 0xbf737871, v36
	v_sub_f32_e32 v58, v42, v28
	v_add_f32_e32 v52, v32, v28
	v_sub_f32_e32 v32, v55, v43
	v_add_f32_e32 v34, v34, v37
	v_sub_f32_e32 v28, v38, v28
	global_wb scope:SCOPE_SE
	s_wait_kmcnt 0x0
	s_barrier_signal -1
	v_fmamk_f32 v48, v32, 0xbf737871, v24
	v_fmac_f32_e32 v33, 0x3f167918, v32
	v_fmac_f32_e32 v35, 0xbf167918, v32
	;; [unrolled: 1-line block ×3, first 2 shown]
	v_add_f32_e32 v32, v55, v43
	v_fmac_f32_e32 v48, 0x3f167918, v36
	v_fmac_f32_e32 v33, 0x3e9e377a, v34
	v_add_f32_e32 v37, v49, v58
	v_fmac_f32_e32 v35, 0x3e9e377a, v34
	v_fmac_f32_e32 v24, 0xbf167918, v36
	v_fma_f32 v49, -0.5, v32, v25
	v_mul_f32_e32 v61, 0xbf167918, v33
	v_add_f32_e32 v34, v39, v29
	v_fmac_f32_e32 v48, 0x3e9e377a, v37
	v_sub_f32_e32 v32, v54, v42
	v_fmac_f32_e32 v24, 0x3e9e377a, v37
	v_dual_fmamk_f32 v37, v28, 0xbf737871, v49 :: v_dual_add_f32 v36, v25, v39
	v_fma_f32 v25, -0.5, v34, v25
	v_sub_f32_e32 v38, v55, v39
	s_delay_alu instid0(VALU_DEP_3) | instskip(NEXT) | instid1(VALU_DEP_4)
	v_dual_sub_f32 v54, v29, v43 :: v_dual_fmac_f32 v37, 0xbf167918, v32
	v_add_f32_e32 v34, v36, v55
	s_delay_alu instid0(VALU_DEP_4) | instskip(SKIP_4) | instid1(VALU_DEP_3)
	v_fmamk_f32 v42, v32, 0x3f737871, v25
	v_dual_fmac_f32 v25, 0xbf737871, v32 :: v_dual_sub_f32 v36, v39, v55
	v_sub_f32_e32 v39, v43, v29
	v_mul_f32_e32 v65, 0xbf737871, v48
	s_barrier_wait -1
	v_fmac_f32_e32 v25, 0x3f167918, v28
	global_inv scope:SCOPE_SE
	v_add_f32_e32 v38, v38, v39
	v_mul_f32_e32 v39, 0x3f4f1bbd, v35
	s_delay_alu instid0(VALU_DEP_2) | instskip(SKIP_3) | instid1(VALU_DEP_3)
	v_fmac_f32_e32 v25, 0x3e9e377a, v38
	v_fmac_f32_e32 v49, 0x3f737871, v28
	;; [unrolled: 1-line block ×3, first 2 shown]
	v_dual_add_f32 v28, v34, v43 :: v_dual_mul_f32 v43, 0x3f4f1bbd, v33
	v_dual_add_f32 v36, v36, v54 :: v_dual_fmac_f32 v49, 0x3f167918, v32
	s_delay_alu instid0(VALU_DEP_1) | instskip(NEXT) | instid1(VALU_DEP_2)
	v_dual_add_f32 v28, v28, v29 :: v_dual_fmac_f32 v37, 0x3e9e377a, v36
	v_dual_fmac_f32 v49, 0x3e9e377a, v36 :: v_dual_fmac_f32 v42, 0x3e9e377a, v38
	v_mul_f32_e32 v32, 0x3e9e377a, v24
	s_delay_alu instid0(VALU_DEP_3) | instskip(NEXT) | instid1(VALU_DEP_3)
	v_fmac_f32_e32 v43, 0x3f167918, v37
	v_mul_f32_e32 v33, 0x3f4f1bbd, v49
	v_fma_f32 v55, 0x3f167918, v49, -v39
	s_delay_alu instid0(VALU_DEP_4) | instskip(SKIP_3) | instid1(VALU_DEP_3)
	v_fma_f32 v29, 0x3f737871, v25, -v32
	v_mul_f32_e32 v25, 0x3e9e377a, v25
	v_dual_fmac_f32 v65, 0x3e9e377a, v42 :: v_dual_add_f32 v32, v50, v52
	v_dual_add_f32 v34, v47, v43 :: v_dual_fmac_f32 v61, 0x3f4f1bbd, v37
	v_fma_f32 v24, 0xbf737871, v24, -v25
	v_mul_f32_e32 v54, 0x3f737871, v42
	v_fma_f32 v25, 0xbf167918, v35, -v33
	v_add_f32_e32 v42, v66, v70
	s_delay_alu instid0(VALU_DEP_4) | instskip(NEXT) | instid1(VALU_DEP_3)
	v_dual_add_f32 v38, v20, v29 :: v_dual_add_f32 v39, v21, v24
	v_dual_fmac_f32 v54, 0x3e9e377a, v48 :: v_dual_add_f32 v49, v76, v25
	v_add_f32_e32 v48, v46, v55
	v_sub_f32_e32 v58, v20, v29
	v_sub_f32_e32 v60, v46, v55
	s_delay_alu instid0(VALU_DEP_4)
	v_add_f32_e32 v36, v51, v54
	v_sub_f32_e32 v54, v51, v54
	v_sub_f32_e32 v29, v63, v75
	v_add_f32_e32 v33, v59, v28
	v_sub_f32_e32 v51, v59, v28
	v_sub_f32_e32 v59, v21, v24
	v_fma_f32 v46, -0.5, v42, v22
	v_dual_add_f32 v35, v53, v61 :: v_dual_sub_f32 v50, v50, v52
	v_dual_sub_f32 v52, v47, v43 :: v_dual_sub_f32 v43, v74, v70
	v_sub_f32_e32 v53, v53, v61
	s_delay_alu instid0(VALU_DEP_4)
	v_dual_fmamk_f32 v47, v29, 0x3f737871, v46 :: v_dual_sub_f32 v28, v67, v71
	v_sub_f32_e32 v42, v62, v66
	v_add_f32_e32 v61, v62, v74
	v_add_f32_e32 v37, v64, v65
	v_sub_f32_e32 v55, v64, v65
	v_fmac_f32_e32 v47, 0x3f167918, v28
	v_add_f32_e32 v21, v42, v43
	v_add_f32_e32 v20, v22, v62
	v_fma_f32 v22, -0.5, v61, v22
	v_sub_f32_e32 v61, v76, v25
	v_sub_f32_e32 v25, v66, v62
	v_dual_fmac_f32 v47, 0x3e9e377a, v21 :: v_dual_sub_f32 v42, v70, v74
	v_add_f32_e32 v64, v67, v71
	v_dual_add_f32 v20, v20, v66 :: v_dual_add_f32 v43, v23, v63
	s_delay_alu instid0(VALU_DEP_3) | instskip(SKIP_1) | instid1(VALU_DEP_4)
	v_dual_fmac_f32 v46, 0xbf737871, v29 :: v_dual_add_f32 v25, v25, v42
	v_fmamk_f32 v24, v28, 0xbf737871, v22
	v_fma_f32 v73, -0.5, v64, v23
	v_sub_f32_e32 v42, v62, v74
	v_fmac_f32_e32 v22, 0x3f737871, v28
	v_add_f32_e32 v20, v20, v70
	v_fmac_f32_e32 v46, 0xbf167918, v28
	v_sub_f32_e32 v65, v56, v40
	v_dual_fmamk_f32 v69, v42, 0xbf737871, v73 :: v_dual_add_f32 v28, v43, v67
	v_sub_f32_e32 v43, v63, v67
	v_fmac_f32_e32 v73, 0x3f737871, v42
	v_fmac_f32_e32 v22, 0xbf167918, v29
	v_sub_f32_e32 v62, v75, v71
	v_dual_fmac_f32 v24, 0x3f167918, v29 :: v_dual_sub_f32 v29, v66, v70
	v_add_f32_e32 v20, v20, v74
	s_delay_alu instid0(VALU_DEP_4) | instskip(SKIP_1) | instid1(VALU_DEP_4)
	v_fmac_f32_e32 v22, 0x3e9e377a, v25
	v_sub_f32_e32 v66, v44, v30
	v_fmac_f32_e32 v24, 0x3e9e377a, v25
	v_fmac_f32_e32 v73, 0x3f167918, v29
	v_add_f32_e32 v25, v43, v62
	v_dual_fmac_f32 v69, 0xbf167918, v29 :: v_dual_add_f32 v62, v26, v40
	v_sub_f32_e32 v43, v71, v75
	s_delay_alu instid0(VALU_DEP_3) | instskip(SKIP_1) | instid1(VALU_DEP_4)
	v_fmac_f32_e32 v73, 0x3e9e377a, v25
	v_dual_fmac_f32 v46, 0x3e9e377a, v21 :: v_dual_add_f32 v21, v28, v71
	v_dual_add_f32 v28, v63, v75 :: v_dual_fmac_f32 v69, 0x3e9e377a, v25
	s_delay_alu instid0(VALU_DEP_2) | instskip(NEXT) | instid1(VALU_DEP_2)
	v_add_f32_e32 v21, v21, v75
	v_dual_fmac_f32 v23, -0.5, v28 :: v_dual_sub_f32 v28, v67, v63
	s_delay_alu instid0(VALU_DEP_1) | instskip(NEXT) | instid1(VALU_DEP_2)
	v_fmamk_f32 v74, v29, 0x3f737871, v23
	v_dual_fmac_f32 v23, 0xbf737871, v29 :: v_dual_add_f32 v28, v28, v43
	v_add_f32_e32 v29, v62, v56
	v_add_f32_e32 v43, v56, v44
	s_delay_alu instid0(VALU_DEP_3) | instskip(NEXT) | instid1(VALU_DEP_3)
	v_fmac_f32_e32 v23, 0x3f167918, v42
	v_add_f32_e32 v25, v29, v44
	s_delay_alu instid0(VALU_DEP_3) | instskip(SKIP_1) | instid1(VALU_DEP_4)
	v_fma_f32 v29, -0.5, v43, v26
	v_sub_f32_e32 v43, v41, v31
	v_fmac_f32_e32 v23, 0x3e9e377a, v28
	s_delay_alu instid0(VALU_DEP_2) | instskip(SKIP_3) | instid1(VALU_DEP_2)
	v_dual_add_f32 v25, v25, v30 :: v_dual_fmamk_f32 v62, v43, 0x3f737871, v29
	v_fmac_f32_e32 v29, 0xbf737871, v43
	v_fmac_f32_e32 v74, 0xbf167918, v42
	v_add_f32_e32 v42, v40, v30
	v_fmac_f32_e32 v74, 0x3e9e377a, v28
	s_delay_alu instid0(VALU_DEP_2) | instskip(SKIP_2) | instid1(VALU_DEP_1)
	v_fma_f32 v63, -0.5, v42, v26
	v_sub_f32_e32 v26, v40, v56
	v_sub_f32_e32 v42, v30, v44
	v_add_f32_e32 v26, v26, v42
	v_sub_f32_e32 v28, v57, v45
	s_delay_alu instid0(VALU_DEP_1) | instskip(NEXT) | instid1(VALU_DEP_1)
	v_dual_add_f32 v42, v65, v66 :: v_dual_fmac_f32 v29, 0xbf167918, v28
	v_fmac_f32_e32 v29, 0x3e9e377a, v26
	v_fmamk_f32 v64, v28, 0xbf737871, v63
	v_fmac_f32_e32 v62, 0x3f167918, v28
	v_fmac_f32_e32 v63, 0x3f737871, v28
	s_delay_alu instid0(VALU_DEP_2) | instskip(NEXT) | instid1(VALU_DEP_2)
	v_fmac_f32_e32 v62, 0x3e9e377a, v26
	v_dual_fmac_f32 v63, 0xbf167918, v43 :: v_dual_add_f32 v26, v57, v45
	s_delay_alu instid0(VALU_DEP_1) | instskip(SKIP_4) | instid1(VALU_DEP_1)
	v_fma_f32 v65, -0.5, v26, v27
	v_sub_f32_e32 v26, v40, v30
	v_sub_f32_e32 v30, v56, v44
	v_add_f32_e32 v28, v41, v31
	v_dual_fmac_f32 v64, 0x3f167918, v43 :: v_dual_add_f32 v43, v27, v41
	v_dual_fmac_f32 v27, -0.5, v28 :: v_dual_add_f32 v28, v43, v57
	v_fmamk_f32 v43, v26, 0xbf737871, v65
	v_fmac_f32_e32 v65, 0x3f737871, v26
	s_delay_alu instid0(VALU_DEP_3) | instskip(SKIP_2) | instid1(VALU_DEP_4)
	v_fmamk_f32 v44, v30, 0x3f737871, v27
	v_dual_fmac_f32 v27, 0xbf737871, v30 :: v_dual_sub_f32 v40, v41, v57
	v_fmac_f32_e32 v63, 0x3e9e377a, v42
	v_fmac_f32_e32 v65, 0x3f167918, v30
	s_delay_alu instid0(VALU_DEP_4) | instskip(NEXT) | instid1(VALU_DEP_4)
	v_fmac_f32_e32 v44, 0xbf167918, v26
	v_fmac_f32_e32 v27, 0x3f167918, v26
	;; [unrolled: 1-line block ×3, first 2 shown]
	v_add_f32_e32 v26, v28, v45
	v_sub_f32_e32 v56, v31, v45
	v_sub_f32_e32 v41, v57, v41
	s_delay_alu instid0(VALU_DEP_2) | instskip(NEXT) | instid1(VALU_DEP_1)
	v_dual_fmac_f32 v43, 0xbf167918, v30 :: v_dual_add_f32 v40, v40, v56
	v_dual_sub_f32 v42, v45, v31 :: v_dual_fmac_f32 v65, 0x3e9e377a, v40
	s_delay_alu instid0(VALU_DEP_1) | instskip(NEXT) | instid1(VALU_DEP_1)
	v_add_f32_e32 v41, v41, v42
	v_fmac_f32_e32 v27, 0x3e9e377a, v41
	v_fmac_f32_e32 v44, 0x3e9e377a, v41
	v_mul_f32_e32 v41, 0x3f4f1bbd, v29
	v_fmac_f32_e32 v43, 0x3e9e377a, v40
	v_mul_f32_e32 v30, 0x3f4f1bbd, v62
	v_mul_f32_e32 v67, 0xbf167918, v62
	s_delay_alu instid0(VALU_DEP_4) | instskip(SKIP_3) | instid1(VALU_DEP_4)
	v_fma_f32 v57, 0x3f167918, v65, -v41
	v_mul_f32_e32 v41, 0x3f4f1bbd, v65
	v_mul_f32_e32 v71, 0xbf737871, v64
	v_mul_f32_e32 v28, 0x3e9e377a, v63
	v_dual_fmac_f32 v67, 0x3f4f1bbd, v43 :: v_dual_add_f32 v62, v46, v57
	s_delay_alu instid0(VALU_DEP_4) | instskip(SKIP_1) | instid1(VALU_DEP_4)
	v_fma_f32 v75, 0xbf167918, v29, -v41
	v_sub_f32_e32 v72, v46, v57
	v_fma_f32 v56, 0x3f737871, v27, -v28
	v_mul_f32_e32 v27, 0x3e9e377a, v27
	v_mul_f32_e32 v45, 0x3f737871, v44
	v_fmac_f32_e32 v71, 0x3e9e377a, v44
	s_delay_alu instid0(VALU_DEP_4) | instskip(NEXT) | instid1(VALU_DEP_4)
	v_dual_add_f32 v29, v69, v67 :: v_dual_add_f32 v42, v22, v56
	v_fma_f32 v44, 0xbf737871, v63, -v27
	v_add_f32_e32 v63, v73, v75
	v_fmac_f32_e32 v45, 0x3e9e377a, v64
	v_dual_add_f32 v31, v26, v31 :: v_dual_add_f32 v26, v20, v25
	s_delay_alu instid0(VALU_DEP_4) | instskip(NEXT) | instid1(VALU_DEP_3)
	v_dual_fmac_f32 v30, 0x3f167918, v43 :: v_dual_add_f32 v43, v23, v44
	v_add_f32_e32 v40, v24, v45
	s_delay_alu instid0(VALU_DEP_3) | instskip(SKIP_1) | instid1(VALU_DEP_4)
	v_dual_sub_f32 v64, v20, v25 :: v_dual_sub_f32 v65, v21, v31
	v_add_f32_e32 v20, v12, v16
	v_dual_add_f32 v28, v47, v30 :: v_dual_add_f32 v41, v74, v71
	v_dual_add_f32 v27, v21, v31 :: v_dual_sub_f32 v66, v47, v30
	v_dual_sub_f32 v67, v69, v67 :: v_dual_sub_f32 v70, v22, v56
	v_sub_f32_e32 v73, v73, v75
	v_sub_f32_e32 v69, v74, v71
	v_fma_f32 v25, -0.5, v20, v0
	v_dual_sub_f32 v31, v8, v16 :: v_dual_sub_f32 v30, v13, v17
	v_add_f32_e32 v22, v0, v4
	v_sub_f32_e32 v68, v24, v45
	v_dual_sub_f32 v24, v5, v9 :: v_dual_add_f32 v45, v4, v8
	s_delay_alu instid0(VALU_DEP_1) | instskip(NEXT) | instid1(VALU_DEP_2)
	v_dual_sub_f32 v71, v23, v44 :: v_dual_fmamk_f32 v20, v24, 0x3f737871, v25
	v_dual_fmac_f32 v0, -0.5, v45 :: v_dual_fmac_f32 v25, 0xbf737871, v24
	v_add_f32_e32 v45, v1, v5
	s_delay_alu instid0(VALU_DEP_2) | instskip(SKIP_2) | instid1(VALU_DEP_1)
	v_fmac_f32_e32 v25, 0xbf167918, v30
	v_add_f32_e32 v21, v22, v12
	v_sub_f32_e32 v22, v4, v12
	v_add_f32_e32 v23, v22, v31
	s_delay_alu instid0(VALU_DEP_3) | instskip(SKIP_1) | instid1(VALU_DEP_3)
	v_dual_add_f32 v21, v21, v16 :: v_dual_fmac_f32 v20, 0x3f167918, v30
	v_sub_f32_e32 v31, v12, v4
	v_dual_sub_f32 v44, v16, v8 :: v_dual_fmac_f32 v25, 0x3e9e377a, v23
	s_delay_alu instid0(VALU_DEP_3) | instskip(SKIP_1) | instid1(VALU_DEP_3)
	v_dual_add_f32 v21, v21, v8 :: v_dual_fmac_f32 v20, 0x3e9e377a, v23
	v_fmamk_f32 v22, v30, 0xbf737871, v0
	v_dual_add_f32 v46, v13, v17 :: v_dual_add_f32 v31, v31, v44
	v_fmac_f32_e32 v0, 0x3f737871, v30
	v_sub_f32_e32 v4, v4, v8
	s_delay_alu instid0(VALU_DEP_4) | instskip(NEXT) | instid1(VALU_DEP_4)
	v_fmac_f32_e32 v22, 0x3f167918, v24
	v_fma_f32 v56, -0.5, v46, v1
	v_add_f32_e32 v30, v45, v13
	v_fmac_f32_e32 v0, 0xbf167918, v24
	v_add_f32_e32 v24, v5, v9
	s_delay_alu instid0(VALU_DEP_4) | instskip(NEXT) | instid1(VALU_DEP_2)
	v_dual_sub_f32 v44, v9, v17 :: v_dual_fmamk_f32 v23, v4, 0xbf737871, v56
	v_dual_fmac_f32 v1, -0.5, v24 :: v_dual_add_f32 v8, v30, v17
	v_sub_f32_e32 v30, v12, v16
	v_sub_f32_e32 v16, v5, v13
	v_dual_sub_f32 v5, v13, v5 :: v_dual_fmac_f32 v22, 0x3e9e377a, v31
	s_delay_alu instid0(VALU_DEP_4) | instskip(SKIP_4) | instid1(VALU_DEP_4)
	v_add_f32_e32 v12, v8, v9
	v_sub_f32_e32 v9, v17, v9
	v_dual_add_f32 v13, v14, v18 :: v_dual_fmac_f32 v0, 0x3e9e377a, v31
	v_sub_f32_e32 v17, v7, v11
	v_sub_f32_e32 v31, v10, v18
	v_add_f32_e32 v5, v5, v9
	v_fmac_f32_e32 v23, 0xbf167918, v30
	v_dual_fmac_f32 v56, 0x3f737871, v4 :: v_dual_add_f32 v9, v2, v6
	v_add_f32_e32 v8, v16, v44
	v_fmamk_f32 v16, v30, 0x3f737871, v1
	v_dual_fmac_f32 v1, 0xbf737871, v30 :: v_dual_sub_f32 v24, v15, v19
	s_delay_alu instid0(VALU_DEP_4) | instskip(SKIP_1) | instid1(VALU_DEP_4)
	v_fmac_f32_e32 v56, 0x3f167918, v30
	v_fma_f32 v30, -0.5, v13, v2
	v_fmac_f32_e32 v16, 0xbf167918, v4
	s_delay_alu instid0(VALU_DEP_4) | instskip(SKIP_2) | instid1(VALU_DEP_3)
	v_dual_fmac_f32 v1, 0x3f167918, v4 :: v_dual_add_f32 v4, v9, v14
	v_add_f32_e32 v9, v6, v10
	v_sub_f32_e32 v13, v6, v14
	v_dual_sub_f32 v44, v18, v10 :: v_dual_fmac_f32 v1, 0x3e9e377a, v5
	s_delay_alu instid0(VALU_DEP_3) | instskip(NEXT) | instid1(VALU_DEP_1)
	v_dual_fmac_f32 v23, 0x3e9e377a, v8 :: v_dual_fmac_f32 v2, -0.5, v9
	v_fmamk_f32 v9, v24, 0xbf737871, v2
	v_add_f32_e32 v4, v4, v18
	v_dual_fmac_f32 v16, 0x3e9e377a, v5 :: v_dual_add_f32 v5, v13, v31
	v_sub_f32_e32 v31, v14, v6
	s_delay_alu instid0(VALU_DEP_4) | instskip(NEXT) | instid1(VALU_DEP_4)
	v_fmac_f32_e32 v9, 0x3f167918, v17
	v_dual_add_f32 v13, v4, v10 :: v_dual_fmac_f32 v56, 0x3e9e377a, v8
	v_sub_f32_e32 v6, v6, v10
	s_delay_alu instid0(VALU_DEP_4) | instskip(SKIP_2) | instid1(VALU_DEP_3)
	v_add_f32_e32 v4, v31, v44
	v_fmamk_f32 v8, v17, 0x3f737871, v30
	v_fmac_f32_e32 v30, 0xbf737871, v17
	v_dual_sub_f32 v10, v14, v18 :: v_dual_fmac_f32 v9, 0x3e9e377a, v4
	v_fmac_f32_e32 v2, 0x3f737871, v24
	s_delay_alu instid0(VALU_DEP_3) | instskip(NEXT) | instid1(VALU_DEP_2)
	v_fmac_f32_e32 v30, 0xbf167918, v24
	v_dual_fmac_f32 v2, 0xbf167918, v17 :: v_dual_add_f32 v17, v7, v11
	v_fmac_f32_e32 v8, 0x3f167918, v24
	s_delay_alu instid0(VALU_DEP_3) | instskip(SKIP_1) | instid1(VALU_DEP_3)
	v_fmac_f32_e32 v30, 0x3e9e377a, v5
	v_add_f32_e32 v24, v15, v19
	v_dual_fmac_f32 v8, 0x3e9e377a, v5 :: v_dual_add_f32 v5, v3, v7
	s_delay_alu instid0(VALU_DEP_2) | instskip(SKIP_2) | instid1(VALU_DEP_4)
	v_fma_f32 v24, -0.5, v24, v3
	v_dual_fmac_f32 v3, -0.5, v17 :: v_dual_sub_f32 v14, v7, v15
	v_sub_f32_e32 v7, v15, v7
	v_add_f32_e32 v5, v5, v15
	v_sub_f32_e32 v15, v19, v11
	v_sub_f32_e32 v17, v11, v19
	s_delay_alu instid0(VALU_DEP_2) | instskip(SKIP_2) | instid1(VALU_DEP_4)
	v_add_f32_e32 v7, v7, v15
	v_mul_f32_e32 v15, 0x3f4f1bbd, v8
	v_fmamk_f32 v31, v10, 0x3f737871, v3
	v_dual_fmac_f32 v3, 0xbf737871, v10 :: v_dual_add_f32 v18, v14, v17
	s_delay_alu instid0(VALU_DEP_1) | instskip(NEXT) | instid1(VALU_DEP_1)
	v_fmac_f32_e32 v3, 0x3f167918, v6
	v_fmac_f32_e32 v3, 0x3e9e377a, v7
	s_delay_alu instid0(VALU_DEP_4) | instskip(SKIP_3) | instid1(VALU_DEP_4)
	v_fmac_f32_e32 v31, 0xbf167918, v6
	v_fmac_f32_e32 v2, 0x3e9e377a, v4
	v_dual_add_f32 v4, v5, v19 :: v_dual_fmamk_f32 v5, v6, 0xbf737871, v24
	v_mul_f32_e32 v19, 0xbf167918, v8
	v_fmac_f32_e32 v31, 0x3e9e377a, v7
	v_fmac_f32_e32 v24, 0x3f737871, v6
	s_delay_alu instid0(VALU_DEP_4) | instskip(NEXT) | instid1(VALU_DEP_3)
	v_fmac_f32_e32 v5, 0xbf167918, v10
	v_mul_f32_e32 v17, 0x3f737871, v31
	s_delay_alu instid0(VALU_DEP_3) | instskip(NEXT) | instid1(VALU_DEP_3)
	v_fmac_f32_e32 v24, 0x3f167918, v10
	v_fmac_f32_e32 v5, 0x3e9e377a, v18
	v_mul_f32_e32 v6, 0x3f4f1bbd, v30
	s_delay_alu instid0(VALU_DEP_4) | instskip(NEXT) | instid1(VALU_DEP_3)
	v_fmac_f32_e32 v17, 0x3e9e377a, v9
	v_fmac_f32_e32 v19, 0x3f4f1bbd, v5
	v_dual_fmac_f32 v15, 0x3f167918, v5 :: v_dual_add_f32 v14, v4, v11
	v_mul_f32_e32 v4, 0x3e9e377a, v2
	s_delay_alu instid0(VALU_DEP_3) | instskip(NEXT) | instid1(VALU_DEP_3)
	v_dual_fmac_f32 v24, 0x3e9e377a, v18 :: v_dual_sub_f32 v5, v23, v19
	v_sub_f32_e32 v47, v12, v14
	s_delay_alu instid0(VALU_DEP_3) | instskip(SKIP_1) | instid1(VALU_DEP_4)
	v_fma_f32 v18, 0x3f737871, v3, -v4
	v_mul_f32_e32 v3, 0x3e9e377a, v3
	v_mul_f32_e32 v4, 0x3f4f1bbd, v24
	v_fma_f32 v7, 0x3f167918, v24, -v6
	s_delay_alu instid0(VALU_DEP_3)
	v_fma_f32 v2, 0xbf737871, v2, -v3
	v_mul_lo_u16 v3, v234, 10
	v_mul_f32_e32 v24, 0xbf737871, v9
	v_sub_f32_e32 v46, v21, v13
	v_fma_f32 v11, 0xbf167918, v30, -v4
	v_sub_f32_e32 v9, v1, v2
	v_and_b32_e32 v3, 0xffff, v3
	v_fmac_f32_e32 v24, 0x3e9e377a, v31
	v_sub_f32_e32 v8, v0, v18
	v_add_f32_e32 v44, v25, v7
	v_add_f32_e32 v45, v56, v11
	v_lshlrev_b32_e32 v219, 3, v3
	v_mul_u32_u24_e32 v3, 10, v171
	v_sub_f32_e32 v4, v20, v15
	v_sub_f32_e32 v6, v22, v17
	v_dual_sub_f32 v10, v25, v7 :: v_dual_sub_f32 v7, v16, v24
	v_sub_f32_e32 v11, v56, v11
	v_lshlrev_b32_e32 v218, 3, v3
	v_mul_u32_u24_e32 v3, 10, v170
	ds_store_b128 v219, v[32:35]
	ds_store_b128 v219, v[36:39] offset:16
	ds_store_b128 v219, v[48:51] offset:32
	;; [unrolled: 1-line block ×4, first 2 shown]
	scratch_store_b32 off, v3, off offset:228 ; 4-byte Folded Spill
	ds_store_b128 v218, v[26:29]
	ds_store_b128 v218, v[40:43] offset:16
	ds_store_b128 v218, v[62:65] offset:32
	;; [unrolled: 1-line block ×4, first 2 shown]
	s_and_saveexec_b32 s0, vcc_lo
	s_cbranch_execz .LBB0_7
; %bb.6:
	v_add_f32_e32 v3, v1, v2
	v_add_f32_e32 v2, v0, v18
	v_mul_u32_u24_e32 v0, 10, v170
	v_dual_add_f32 v1, v16, v24 :: v_dual_add_f32 v16, v23, v19
	v_dual_add_f32 v14, v12, v14 :: v_dual_add_f32 v13, v21, v13
	s_delay_alu instid0(VALU_DEP_3)
	v_dual_add_f32 v15, v20, v15 :: v_dual_lshlrev_b32 v12, 3, v0
	v_add_f32_e32 v0, v22, v17
	ds_store_b128 v12, v[13:16]
	ds_store_b128 v12, v[0:3] offset:16
	ds_store_b128 v12, v[44:47] offset:32
	;; [unrolled: 1-line block ×4, first 2 shown]
.LBB0_7:
	s_wait_alu 0xfffe
	s_or_b32 exec_lo, exec_lo, s0
	v_add_nc_u32_e32 v0, 0x1400, v255
	global_wb scope:SCOPE_SE
	s_wait_storecnt_dscnt 0x0
	s_barrier_signal -1
	s_barrier_wait -1
	global_inv scope:SCOPE_SE
	ds_load_2addr_b64 v[56:59], v255 offset1:90
	ds_load_2addr_b64 v[88:91], v0 offset0:110 offset1:200
	v_add_nc_u32_e32 v0, 0x2c00, v255
	v_add_nc_u32_e32 v1, 0x400, v255
	;; [unrolled: 1-line block ×5, first 2 shown]
	ds_load_2addr_b64 v[92:95], v0 offset0:92 offset1:182
	ds_load_2addr_b64 v[52:55], v1 offset0:52 offset1:142
	;; [unrolled: 1-line block ×5, first 2 shown]
	v_add_nc_u32_e32 v0, 0x2000, v255
	v_add_nc_u32_e32 v1, 0x3800, v255
	;; [unrolled: 1-line block ×5, first 2 shown]
	ds_load_2addr_b64 v[84:87], v0 offset0:86 offset1:176
	ds_load_2addr_b64 v[80:83], v1 offset0:68 offset1:158
	;; [unrolled: 1-line block ×5, first 2 shown]
	v_cmp_gt_u16_e64 s0, 30, v234
	s_delay_alu instid0(VALU_DEP_1)
	s_and_saveexec_b32 s1, s0
	s_cbranch_execz .LBB0_9
; %bb.8:
	ds_load_b64 v[44:45], v255 offset:5760
	ds_load_b64 v[46:47], v255 offset:11760
	;; [unrolled: 1-line block ×3, first 2 shown]
.LBB0_9:
	s_wait_alu 0xfffe
	s_or_b32 exec_lo, exec_lo, s1
	v_and_b32_e32 v97, 0xffff, v170
	v_add_co_u32 v164, s1, 0x10e, v234
	v_and_b32_e32 v0, 0xff, v234
	v_and_b32_e32 v100, 0xff, v171
	s_delay_alu instid0(VALU_DEP_4) | instskip(NEXT) | instid1(VALU_DEP_4)
	v_mul_u32_u24_e32 v1, 0xcccd, v97
	v_and_b32_e32 v98, 0xffff, v164
	s_wait_alu 0xf1ff
	v_add_co_ci_u32_e64 v165, null, 0, 0, s1
	v_mul_lo_u16 v0, 0xcd, v0
	v_mul_lo_u16 v2, 0xcd, v100
	v_lshrrev_b32_e32 v101, 19, v1
	v_mul_u32_u24_e32 v1, 0xcccd, v98
	v_add_co_u32 v160, s1, 0x168, v234
	v_lshrrev_b16 v102, 11, v0
	v_lshrrev_b16 v103, 11, v2
	v_mul_lo_u16 v0, v101, 10
	v_lshrrev_b32_e32 v104, 19, v1
	v_add_co_u32 v120, null, 0x21c, v234
	v_mul_lo_u16 v1, v102, 10
	v_mul_lo_u16 v2, v103, 10
	v_sub_nc_u16 v105, v170, v0
	v_mul_lo_u16 v0, v104, 10
	v_add_nc_u16 v121, v234, 0x1c2
	v_sub_nc_u16 v1, v234, v1
	v_sub_nc_u16 v2, v171, v2
	v_lshlrev_b16 v3, 1, v105
	v_sub_nc_u16 v106, v164, v0
	v_add_nc_u16 v122, v234, 0x276
	v_and_b32_e32 v107, 0xff, v1
	v_and_b32_e32 v108, 0xff, v2
	;; [unrolled: 1-line block ×3, first 2 shown]
	v_lshlrev_b16 v0, 1, v106
	v_add_nc_u16 v123, v234, 0x2d0
	v_lshlrev_b32_e32 v2, 4, v107
	v_lshlrev_b32_e32 v3, 4, v108
	s_clause 0x1
	global_load_b128 v[32:35], v2, s[2:3]
	global_load_b128 v[24:27], v3, s[2:3]
	v_and_b32_e32 v0, 0xffff, v0
	v_lshlrev_b32_e32 v1, 3, v1
	v_and_b32_e32 v99, 0xffff, v160
	v_and_b32_e32 v3, 0xffff, v121
	v_mad_u16 v101, v101, 30, v105
	v_lshlrev_b32_e32 v0, 3, v0
	s_clause 0x1
	global_load_b128 v[16:19], v1, s[2:3]
	global_load_b128 v[12:15], v0, s[2:3]
	v_mul_u32_u24_e32 v2, 0xcccd, v99
	v_and_b32_e32 v0, 0xffff, v120
	v_mul_u32_u24_e32 v1, 0xcccd, v3
	v_and_b32_e32 v3, 0xffff, v123
	v_and_b32_e32 v103, 0xffff, v103
	v_lshrrev_b32_e32 v109, 19, v2
	v_and_b32_e32 v2, 0xffff, v122
	v_mul_u32_u24_e32 v0, 0xcccd, v0
	v_lshrrev_b32_e32 v110, 19, v1
	v_mul_u32_u24_e32 v103, 30, v103
	v_mul_lo_u16 v1, v109, 10
	v_mul_u32_u24_e32 v2, 0xcccd, v2
	v_lshrrev_b32_e32 v111, 19, v0
	v_mul_lo_u16 v0, v110, 10
	s_wait_alu 0xf1ff
	v_add_co_ci_u32_e64 v161, null, 0, 0, s1
	v_sub_nc_u16 v112, v160, v1
	v_mul_u32_u24_e32 v1, 0xcccd, v3
	v_lshrrev_b32_e32 v113, 19, v2
	v_mul_lo_u16 v2, v111, 10
	v_sub_nc_u16 v114, v121, v0
	v_lshlrev_b16 v0, 1, v112
	v_lshrrev_b32_e32 v115, 19, v1
	v_mul_lo_u16 v1, v113, 10
	v_sub_nc_u16 v116, v120, v2
	v_lshlrev_b16 v2, 1, v114
	v_and_b32_e32 v0, 0xffff, v0
	v_mul_lo_u16 v3, v115, 10
	v_sub_nc_u16 v117, v122, v1
	v_lshlrev_b16 v1, 1, v116
	v_and_b32_e32 v2, 0xffff, v2
	v_lshlrev_b32_e32 v0, 3, v0
	v_sub_nc_u16 v118, v123, v3
	v_lshlrev_b16 v3, 1, v117
	v_and_b32_e32 v1, 0xffff, v1
	v_mad_u16 v105, v111, 30, v116
	global_load_b128 v[40:43], v0, s[2:3]
	v_and_b32_e32 v3, 0xffff, v3
	v_lshlrev_b32_e32 v1, 3, v1
	global_load_b128 v[28:31], v1, s[2:3]
	v_lshlrev_b32_e32 v2, 3, v2
	v_lshlrev_b16 v0, 1, v118
	v_and_b32_e32 v102, 0xffff, v102
	global_load_b128 v[36:39], v2, s[2:3]
	v_and_b32_e32 v0, 0xffff, v0
	v_lshlrev_b32_e32 v2, 3, v3
	v_mul_u32_u24_e32 v102, 30, v102
	v_and_b32_e32 v101, 0xffff, v101
	s_delay_alu instid0(VALU_DEP_4) | instskip(NEXT) | instid1(VALU_DEP_3)
	v_lshlrev_b32_e32 v0, 3, v0
	v_add_lshl_u32 v144, v102, v107, 3
	v_mad_u16 v102, v104, 30, v106
	v_mad_u16 v106, v113, 30, v117
	v_mad_u16 v107, v115, 30, v118
	v_mad_u16 v104, v110, 30, v114
	s_wait_loadcnt_dscnt 0x101
	v_dual_mul_f32 v110, v80, v43 :: v_dual_mul_f32 v115, v77, v29
	v_mul_f32_e32 v116, v76, v29
	s_wait_dscnt 0x0
	v_mul_f32_e32 v118, v72, v31
	v_mul_f32_e32 v117, v73, v31
	s_wait_loadcnt 0x0
	v_mul_f32_e32 v113, v83, v39
	v_mul_f32_e32 v111, v87, v37
	s_clause 0x1
	global_load_b128 v[20:23], v2, s[2:3]
	global_load_b128 v[0:3], v0, s[2:3]
	scratch_store_b32 off, v107, off offset:144 ; 4-byte Folded Spill
	v_mul_f32_e32 v107, v95, v27
	v_add_lshl_u32 v143, v103, v108, 3
	v_mad_u16 v103, v109, 30, v112
	v_mul_f32_e32 v114, v82, v39
	v_lshlrev_b32_e32 v146, 3, v101
	v_dual_mul_f32 v112, v86, v37 :: v_dual_and_b32 v101, 0xffff, v102
	s_delay_alu instid0(VALU_DEP_4)
	v_and_b32_e32 v102, 0xffff, v103
	v_and_b32_e32 v103, 0xffff, v104
	;; [unrolled: 1-line block ×4, first 2 shown]
	v_lshlrev_b32_e32 v145, 3, v101
	v_mul_f32_e32 v101, v89, v33
	v_lshlrev_b32_e32 v141, 3, v103
	v_dual_mul_f32 v103, v93, v35 :: v_dual_mul_f32 v106, v90, v25
	v_dual_mul_f32 v108, v94, v27 :: v_dual_lshlrev_b32 v139, 3, v105
	v_mul_f32_e32 v105, v91, v25
	s_delay_alu instid0(VALU_DEP_3) | instskip(NEXT) | instid1(VALU_DEP_3)
	v_dual_mul_f32 v109, v81, v43 :: v_dual_fmac_f32 v106, v91, v24
	v_fmac_f32_e32 v108, v95, v26
	v_fma_f32 v91, v94, v26, -v107
	s_delay_alu instid0(VALU_DEP_4) | instskip(SKIP_3) | instid1(VALU_DEP_3)
	v_fma_f32 v90, v90, v24, -v105
	v_dual_mul_f32 v94, v65, v19 :: v_dual_mul_f32 v107, v84, v41
	v_dual_add_f32 v136, v59, v106 :: v_dual_mul_f32 v95, v70, v13
	v_mul_f32_e32 v105, v85, v41
	v_fma_f32 v94, v64, v18, -v94
	s_delay_alu instid0(VALU_DEP_4) | instskip(NEXT) | instid1(VALU_DEP_4)
	v_dual_fmac_f32 v107, v85, v40 :: v_dual_add_f32 v134, v90, v91
	v_fmac_f32_e32 v95, v71, v12
	s_delay_alu instid0(VALU_DEP_4)
	v_fma_f32 v84, v84, v40, -v105
	v_fma_f32 v85, v80, v42, -v109
	;; [unrolled: 1-line block ×4, first 2 shown]
	global_wb scope:SCOPE_SE
	s_wait_loadcnt 0x0
	s_wait_storecnt 0x0
	s_barrier_signal -1
	s_barrier_wait -1
	global_inv scope:SCOPE_SE
	scratch_store_b32 off, v144, off offset:168 ; 4-byte Folded Spill
	v_sub_f32_e32 v135, v106, v108
	v_dual_add_f32 v133, v58, v90 :: v_dual_fmac_f32 v112, v87, v36
	v_fma_f32 v87, v72, v30, -v117
	v_fma_f32 v58, -0.5, v134, v58
	v_dual_mul_f32 v119, v79, v21 :: v_dual_lshlrev_b32 v142, 3, v102
	v_mul_f32_e32 v127, v47, v1
	v_mul_f32_e32 v102, v88, v33
	v_fma_f32 v88, v88, v32, -v101
	v_dual_mul_f32 v125, v75, v23 :: v_dual_lshlrev_b32 v140, 3, v104
	v_mul_f32_e32 v104, v92, v35
	s_delay_alu instid0(VALU_DEP_4) | instskip(SKIP_2) | instid1(VALU_DEP_4)
	v_fmac_f32_e32 v102, v89, v32
	v_fma_f32 v89, v92, v34, -v103
	v_dual_mul_f32 v92, v69, v17 :: v_dual_mul_f32 v101, v64, v19
	v_dual_fmac_f32 v104, v93, v34 :: v_dual_mul_f32 v93, v68, v17
	v_mul_f32_e32 v103, v66, v15
	v_dual_add_f32 v129, v56, v88 :: v_dual_add_f32 v132, v57, v102
	v_add_f32_e32 v130, v88, v89
	v_sub_f32_e32 v88, v88, v89
	v_add_f32_e32 v106, v106, v108
	v_fma_f32 v92, v68, v16, -v92
	v_fmac_f32_e32 v93, v69, v16
	v_dual_fmac_f32 v101, v65, v18 :: v_dual_mul_f32 v68, v71, v13
	v_dual_mul_f32 v69, v67, v15 :: v_dual_mul_f32 v124, v78, v21
	v_mul_f32_e32 v126, v74, v23
	v_dual_mul_f32 v65, v46, v1 :: v_dual_mul_f32 v128, v5, v3
	v_dual_mul_f32 v64, v4, v3 :: v_dual_sub_f32 v131, v102, v104
	v_dual_add_f32 v102, v102, v104 :: v_dual_fmac_f32 v103, v67, v14
	s_delay_alu instid0(VALU_DEP_3)
	v_dual_sub_f32 v90, v90, v91 :: v_dual_fmac_f32 v65, v47, v0
	v_add_f32_e32 v67, v129, v89
	v_dual_fmac_f32 v116, v77, v28 :: v_dual_fmac_f32 v59, -0.5, v106
	v_fma_f32 v137, v70, v12, -v68
	v_fma_f32 v138, v66, v14, -v69
	v_dual_fmac_f32 v114, v83, v38 :: v_dual_sub_f32 v47, v93, v101
	v_dual_fmac_f32 v118, v73, v30 :: v_dual_sub_f32 v89, v95, v103
	v_fma_f32 v77, v78, v20, -v119
	v_fmac_f32_e32 v124, v79, v20
	v_fma_f32 v105, v74, v22, -v125
	v_fmac_f32_e32 v126, v75, v22
	v_fma_f32 v66, v46, v0, -v127
	v_fma_f32 v46, v4, v2, -v128
	v_dual_fmac_f32 v64, v5, v2 :: v_dual_add_f32 v83, v95, v103
	v_fma_f32 v56, -0.5, v130, v56
	v_fma_f32 v57, -0.5, v102, v57
	v_fmac_f32_e32 v110, v81, v42
	v_fma_f32 v81, v76, v28, -v115
	v_add_f32_e32 v4, v52, v92
	v_dual_add_f32 v5, v92, v94 :: v_dual_add_f32 v76, v53, v93
	v_dual_sub_f32 v79, v92, v94 :: v_dual_fmamk_f32 v74, v90, 0xbf5db3d7, v59
	v_dual_fmac_f32 v59, 0x3f5db3d7, v90 :: v_dual_add_f32 v78, v93, v101
	s_delay_alu instid0(VALU_DEP_4)
	v_add_f32_e32 v75, v4, v94
	v_dual_add_f32 v68, v132, v104 :: v_dual_fmamk_f32 v71, v131, 0x3f5db3d7, v56
	v_dual_add_f32 v69, v133, v91 :: v_dual_add_f32 v70, v136, v108
	v_fmamk_f32 v73, v135, 0x3f5db3d7, v58
	v_fmac_f32_e32 v56, 0xbf5db3d7, v131
	v_dual_fmamk_f32 v72, v88, 0xbf5db3d7, v57 :: v_dual_add_f32 v93, v49, v107
	v_fmac_f32_e32 v57, 0x3f5db3d7, v88
	v_fmac_f32_e32 v58, 0xbf5db3d7, v135
	v_fma_f32 v52, -0.5, v5, v52
	v_dual_add_f32 v76, v76, v101 :: v_dual_add_f32 v109, v81, v87
	v_fma_f32 v53, -0.5, v78, v53
	v_dual_add_f32 v4, v54, v137 :: v_dual_add_f32 v5, v137, v138
	v_dual_add_f32 v82, v55, v95 :: v_dual_sub_f32 v111, v116, v118
	v_dual_sub_f32 v90, v137, v138 :: v_dual_add_f32 v125, v63, v124
	v_dual_add_f32 v88, v48, v84 :: v_dual_sub_f32 v115, v81, v87
	v_dual_add_f32 v91, v84, v85 :: v_dual_sub_f32 v92, v107, v110
	v_dual_add_f32 v117, v77, v105 :: v_dual_add_f32 v94, v107, v110
	v_sub_f32_e32 v127, v77, v105
	v_dual_sub_f32 v95, v84, v85 :: v_dual_add_f32 v84, v50, v80
	v_add_f32_e32 v113, v116, v118
	v_dual_add_f32 v101, v80, v86 :: v_dual_add_f32 v104, v51, v112
	v_sub_f32_e32 v119, v124, v126
	v_add_f32_e32 v106, v112, v114
	v_dual_add_f32 v124, v124, v126 :: v_dual_fmac_f32 v55, -0.5, v83
	v_add_f32_e32 v128, v66, v46
	v_dual_add_f32 v130, v65, v64 :: v_dual_add_f32 v83, v84, v86
	v_dual_sub_f32 v102, v112, v114 :: v_dual_sub_f32 v129, v65, v64
	v_sub_f32_e32 v107, v80, v86
	v_dual_add_f32 v108, v60, v81 :: v_dual_sub_f32 v131, v66, v46
	v_add_f32_e32 v112, v61, v116
	v_dual_add_f32 v116, v62, v77 :: v_dual_fmamk_f32 v77, v47, 0x3f5db3d7, v52
	v_dual_fmac_f32 v52, 0xbf5db3d7, v47 :: v_dual_fmac_f32 v51, -0.5, v106
	v_fmamk_f32 v78, v79, 0xbf5db3d7, v53
	v_fmac_f32_e32 v53, 0x3f5db3d7, v79
	v_add_f32_e32 v79, v4, v138
	v_fma_f32 v54, -0.5, v5, v54
	v_dual_add_f32 v80, v82, v103 :: v_dual_add_f32 v47, v88, v85
	v_fma_f32 v81, -0.5, v91, v48
	v_dual_add_f32 v48, v93, v110 :: v_dual_fmac_f32 v63, -0.5, v124
	v_fma_f32 v82, -0.5, v94, v49
	v_fma_f32 v50, -0.5, v101, v50
	;; [unrolled: 1-line block ×7, first 2 shown]
	v_add_f32_e32 v84, v104, v114
	v_add_f32_e32 v86, v112, v118
	;; [unrolled: 1-line block ×3, first 2 shown]
	ds_store_2addr_b64 v144, v[67:68], v[71:72] offset1:10
	ds_store_b64 v144, v[56:57] offset:160
	ds_store_2addr_b64 v143, v[69:70], v[73:74] offset1:10
	ds_store_b64 v143, v[58:59] offset:160
	v_fmamk_f32 v59, v95, 0xbf5db3d7, v82
	v_fmamk_f32 v56, v89, 0x3f5db3d7, v54
	v_dual_fmac_f32 v54, 0xbf5db3d7, v89 :: v_dual_fmamk_f32 v163, v131, 0xbf5db3d7, v5
	v_fmamk_f32 v57, v90, 0xbf5db3d7, v55
	v_fmac_f32_e32 v55, 0x3f5db3d7, v90
	v_dual_fmamk_f32 v58, v92, 0x3f5db3d7, v81 :: v_dual_fmamk_f32 v67, v102, 0x3f5db3d7, v50
	v_fmac_f32_e32 v81, 0xbf5db3d7, v92
	v_fmac_f32_e32 v82, 0x3f5db3d7, v95
	;; [unrolled: 1-line block ×3, first 2 shown]
	v_fmamk_f32 v68, v107, 0xbf5db3d7, v51
	v_dual_fmac_f32 v51, 0x3f5db3d7, v107 :: v_dual_fmamk_f32 v162, v129, 0x3f5db3d7, v4
	v_fmamk_f32 v69, v111, 0x3f5db3d7, v60
	v_fmac_f32_e32 v60, 0xbf5db3d7, v111
	v_fmamk_f32 v70, v115, 0xbf5db3d7, v61
	v_fmac_f32_e32 v61, 0x3f5db3d7, v115
	;; [unrolled: 2-line block ×4, first 2 shown]
	v_fmac_f32_e32 v4, 0xbf5db3d7, v129
	v_fmac_f32_e32 v5, 0x3f5db3d7, v131
	v_add_f32_e32 v85, v108, v87
	v_add_f32_e32 v87, v116, v105
	s_clause 0x1
	scratch_store_b32 off, v143, off offset:164
	scratch_store_b32 off, v146, off offset:176
	ds_store_2addr_b64 v146, v[75:76], v[77:78] offset1:10
	ds_store_b64 v146, v[52:53] offset:160
	ds_store_2addr_b64 v145, v[79:80], v[56:57] offset1:10
	scratch_store_b32 off, v145, off offset:172 ; 4-byte Folded Spill
	ds_store_b64 v145, v[54:55] offset:160
	ds_store_2addr_b64 v142, v[47:48], v[58:59] offset1:10
	scratch_store_b32 off, v142, off offset:160 ; 4-byte Folded Spill
	;; [unrolled: 3-line block ×5, first 2 shown]
	ds_store_b64 v139, v[62:63] offset:160
	s_and_saveexec_b32 s1, s0
	s_cbranch_execz .LBB0_11
; %bb.10:
	scratch_load_b32 v47, off, off offset:144 ; 4-byte Folded Reload
	v_dual_add_f32 v45, v45, v65 :: v_dual_add_f32 v44, v44, v66
	s_wait_loadcnt 0x0
	s_delay_alu instid0(VALU_DEP_1) | instskip(NEXT) | instid1(VALU_DEP_1)
	v_dual_add_f32 v44, v44, v46 :: v_dual_and_b32 v47, 0xffff, v47
	v_dual_add_f32 v45, v45, v64 :: v_dual_lshlrev_b32 v46, 3, v47
	ds_store_2addr_b64 v46, v[44:45], v[162:163] offset1:10
	ds_store_b64 v46, v[4:5] offset:160
.LBB0_11:
	s_wait_alu 0xfffe
	s_or_b32 exec_lo, exec_lo, s1
	v_and_b32_e32 v44, 0xff, v234
	v_mul_lo_u16 v45, 0x89, v100
	global_wb scope:SCOPE_SE
	s_wait_storecnt_dscnt 0x0
	s_barrier_signal -1
	s_barrier_wait -1
	v_mul_lo_u16 v44, 0x89, v44
	v_lshrrev_b16 v84, 12, v45
	global_inv scope:SCOPE_SE
	v_add_nc_u32_e32 v100, 0x800, v255
	v_add_nc_u32_e32 v169, 0x2800, v255
	v_lshrrev_b16 v60, 12, v44
	v_mul_lo_u16 v44, v84, 30
	v_add_nc_u32_e32 v173, 0x2000, v255
	v_add_nc_u32_e32 v175, 0x1400, v255
	s_delay_alu instid0(VALU_DEP_4) | instskip(NEXT) | instid1(VALU_DEP_4)
	v_mul_lo_u16 v45, v60, 30
	v_sub_nc_u16 v44, v171, v44
	v_and_b32_e32 v60, 0xffff, v60
	s_delay_alu instid0(VALU_DEP_3) | instskip(NEXT) | instid1(VALU_DEP_3)
	v_sub_nc_u16 v45, v234, v45
	v_and_b32_e32 v85, 0xff, v44
	s_delay_alu instid0(VALU_DEP_3) | instskip(NEXT) | instid1(VALU_DEP_3)
	v_mul_u32_u24_e32 v60, 0x96, v60
	v_and_b32_e32 v61, 0xff, v45
	s_delay_alu instid0(VALU_DEP_3) | instskip(NEXT) | instid1(VALU_DEP_2)
	v_lshlrev_b32_e32 v48, 5, v85
	v_lshlrev_b32_e32 v56, 5, v61
	s_clause 0x3
	global_load_b128 v[44:47], v48, s[2:3] offset:160
	global_load_b128 v[52:55], v56, s[2:3] offset:160
	;; [unrolled: 1-line block ×4, first 2 shown]
	v_add_nc_u32_e32 v89, 0x1800, v255
	ds_load_2addr_b64 v[101:104], v100 offset0:104 offset1:194
	v_add_nc_u32_e32 v172, 0x400, v255
	v_add_nc_u32_e32 v174, 0x3c00, v255
	ds_load_2addr_b64 v[62:65], v89 offset0:132 offset1:222
	s_wait_loadcnt_dscnt 0x300
	v_mul_f32_e32 v86, v64, v47
	s_wait_loadcnt 0x2
	v_mul_f32_e32 v67, v63, v55
	v_add_lshl_u32 v177, v60, v61, 3
	v_mul_f32_e32 v60, v104, v53
	v_mul_f32_e32 v66, v65, v47
	;; [unrolled: 1-line block ×3, first 2 shown]
	v_fma_f32 v93, v62, v54, -v67
	v_fmac_f32_e32 v86, v65, v46
	v_fma_f32 v119, v103, v52, -v60
	v_add_nc_u32_e32 v60, 0x2400, v255
	v_fma_f32 v90, v64, v46, -v66
	v_dual_mul_f32 v151, v103, v53 :: v_dual_add_nc_u32 v168, 0x1000, v255
	ds_load_2addr_b64 v[105:108], v60 offset0:108 offset1:198
	v_fmac_f32_e32 v151, v104, v52
	s_wait_loadcnt_dscnt 0x0
	v_mul_f32_e32 v60, v108, v57
	v_mul_f32_e32 v150, v107, v57
	s_delay_alu instid0(VALU_DEP_2) | instskip(SKIP_1) | instid1(VALU_DEP_3)
	v_fma_f32 v148, v107, v56, -v60
	v_add_nc_u32_e32 v88, 0x3800, v255
	v_fmac_f32_e32 v150, v108, v56
	ds_load_2addr_b64 v[107:110], v255 offset1:90
	v_sub_f32_e32 v60, v119, v93
	v_fmac_f32_e32 v92, v63, v54
	ds_load_2addr_b64 v[62:65], v88 offset0:8 offset1:98
	v_sub_f32_e32 v167, v93, v148
	s_wait_dscnt 0x0
	v_mul_f32_e32 v67, v63, v59
	v_mul_f32_e32 v94, v62, v59
	v_mul_f32_e32 v66, v65, v51
	v_mul_f32_e32 v87, v64, v51
	s_delay_alu instid0(VALU_DEP_4) | instskip(NEXT) | instid1(VALU_DEP_4)
	v_fma_f32 v95, v62, v58, -v67
	v_fmac_f32_e32 v94, v63, v58
	v_mul_u32_u24_e32 v62, 0x8889, v99
	s_delay_alu instid0(VALU_DEP_4) | instskip(NEXT) | instid1(VALU_DEP_4)
	v_fmac_f32_e32 v87, v65, v50
	v_sub_f32_e32 v61, v95, v148
	s_delay_alu instid0(VALU_DEP_4) | instskip(NEXT) | instid1(VALU_DEP_4)
	v_sub_f32_e32 v158, v151, v94
	v_lshrrev_b32_e32 v154, 20, v62
	v_sub_f32_e32 v159, v119, v95
	s_delay_alu instid0(VALU_DEP_4) | instskip(SKIP_3) | instid1(VALU_DEP_4)
	v_dual_add_f32 v149, v60, v61 :: v_dual_add_f32 v60, v93, v148
	v_add_f32_e32 v61, v92, v150
	v_sub_f32_e32 v166, v92, v150
	v_fma_f32 v91, v64, v50, -v66
	v_fma_f32 v144, -0.5, v60, v107
	s_delay_alu instid0(VALU_DEP_4) | instskip(SKIP_1) | instid1(VALU_DEP_1)
	v_fma_f32 v145, -0.5, v61, v108
	v_dual_sub_f32 v60, v151, v92 :: v_dual_sub_f32 v61, v94, v150
	v_add_f32_e32 v152, v60, v61
	v_add_f32_e32 v60, v107, v119
	;; [unrolled: 1-line block ×3, first 2 shown]
	s_delay_alu instid0(VALU_DEP_1) | instskip(NEXT) | instid1(VALU_DEP_1)
	v_dual_add_f32 v60, v60, v93 :: v_dual_add_f32 v61, v61, v92
	v_dual_sub_f32 v93, v93, v119 :: v_dual_add_f32 v60, v60, v148
	s_delay_alu instid0(VALU_DEP_1) | instskip(SKIP_2) | instid1(VALU_DEP_2)
	v_add_f32_e32 v103, v60, v95
	v_mul_u32_u24_e32 v60, 0x8889, v97
	v_fmamk_f32 v97, v158, 0x3f737871, v144
	v_lshrrev_b32_e32 v99, 20, v60
	s_delay_alu instid0(VALU_DEP_2) | instskip(SKIP_1) | instid1(VALU_DEP_3)
	v_fmac_f32_e32 v97, 0x3f167918, v166
	v_add_f32_e32 v61, v61, v150
	v_mul_lo_u16 v60, v99, 30
	s_delay_alu instid0(VALU_DEP_2) | instskip(SKIP_2) | instid1(VALU_DEP_4)
	v_dual_fmac_f32 v97, 0x3e9e377a, v149 :: v_dual_add_f32 v104, v61, v94
	v_mul_u32_u24_e32 v61, 0x8889, v98
	v_fmamk_f32 v98, v159, 0xbf737871, v145
	v_sub_nc_u16 v155, v170, v60
	s_delay_alu instid0(VALU_DEP_3) | instskip(NEXT) | instid1(VALU_DEP_3)
	v_lshrrev_b32_e32 v153, 20, v61
	v_fmac_f32_e32 v98, 0xbf167918, v167
	s_delay_alu instid0(VALU_DEP_2) | instskip(NEXT) | instid1(VALU_DEP_2)
	v_mul_lo_u16 v60, v153, 30
	v_fmac_f32_e32 v98, 0x3e9e377a, v152
	s_delay_alu instid0(VALU_DEP_2) | instskip(SKIP_1) | instid1(VALU_DEP_2)
	v_sub_nc_u16 v156, v164, v60
	v_mul_lo_u16 v60, v154, 30
	v_lshlrev_b16 v61, 5, v156
	s_delay_alu instid0(VALU_DEP_2) | instskip(SKIP_1) | instid1(VALU_DEP_3)
	v_sub_nc_u16 v157, v160, v60
	v_lshlrev_b16 v60, 5, v155
	v_and_b32_e32 v62, 0xffff, v61
	s_delay_alu instid0(VALU_DEP_3) | instskip(NEXT) | instid1(VALU_DEP_3)
	v_lshlrev_b16 v61, 5, v157
	v_and_b32_e32 v60, 0xffff, v60
	s_delay_alu instid0(VALU_DEP_2) | instskip(NEXT) | instid1(VALU_DEP_2)
	v_and_b32_e32 v64, 0xffff, v61
	v_add_co_u32 v60, s1, s2, v60
	s_wait_alu 0xf1ff
	v_add_co_ci_u32_e64 v61, null, s3, 0, s1
	v_add_co_u32 v62, s1, s2, v62
	s_wait_alu 0xf1ff
	v_add_co_ci_u32_e64 v63, null, s3, 0, s1
	s_clause 0x3
	global_load_b128 v[80:83], v[60:61], off offset:160
	global_load_b128 v[76:79], v[60:61], off offset:176
	;; [unrolled: 1-line block ×4, first 2 shown]
	v_add_co_u32 v111, s1, s2, v64
	s_wait_alu 0xf1ff
	v_add_co_ci_u32_e64 v112, null, s3, 0, s1
	ds_load_b64 v[146:147], v255 offset:17280
	s_clause 0x1
	global_load_b128 v[64:67], v[111:112], off offset:160
	global_load_b128 v[60:63], v[111:112], off offset:176
	v_add_nc_u32_e32 v176, 0x3000, v255
	ds_load_2addr_b64 v[111:114], v168 offset0:28 offset1:118
	ds_load_2addr_b64 v[115:118], v169 offset0:160 offset1:250
	;; [unrolled: 1-line block ×7, first 2 shown]
	global_wb scope:SCOPE_SE
	s_wait_loadcnt_dscnt 0x0
	s_barrier_signal -1
	s_barrier_wait -1
	global_inv scope:SCOPE_SE
	ds_store_2addr_b64 v177, v[103:104], v[97:98] offset1:30
	v_sub_f32_e32 v97, v148, v95
	v_add_f32_e32 v103, v151, v94
	v_add_f32_e32 v95, v119, v95
	v_fmac_f32_e32 v145, 0x3f737871, v159
	s_delay_alu instid0(VALU_DEP_4) | instskip(NEXT) | instid1(VALU_DEP_4)
	v_dual_add_f32 v97, v93, v97 :: v_dual_and_b32 v84, 0xffff, v84
	v_fma_f32 v93, -0.5, v103, v108
	s_delay_alu instid0(VALU_DEP_3) | instskip(SKIP_2) | instid1(VALU_DEP_4)
	v_fmac_f32_e32 v145, 0x3f167918, v167
	v_sub_f32_e32 v98, v92, v151
	v_fma_f32 v92, -0.5, v95, v107
	v_dual_fmamk_f32 v95, v167, 0x3f737871, v93 :: v_dual_sub_f32 v94, v150, v94
	v_dual_fmac_f32 v93, 0xbf737871, v167 :: v_dual_fmac_f32 v144, 0xbf737871, v158
	v_fmac_f32_e32 v145, 0x3e9e377a, v152
	s_delay_alu instid0(VALU_DEP_3) | instskip(NEXT) | instid1(VALU_DEP_3)
	v_dual_fmac_f32 v95, 0xbf167918, v159 :: v_dual_add_f32 v98, v98, v94
	v_fmac_f32_e32 v93, 0x3f167918, v159
	s_delay_alu instid0(VALU_DEP_4) | instskip(SKIP_1) | instid1(VALU_DEP_4)
	v_dual_fmac_f32 v144, 0xbf167918, v166 :: v_dual_mul_f32 v103, v111, v45
	v_mul_u32_u24_e32 v84, 0x96, v84
	v_fmac_f32_e32 v95, 0x3e9e377a, v98
	s_delay_alu instid0(VALU_DEP_4) | instskip(NEXT) | instid1(VALU_DEP_4)
	v_dual_fmac_f32 v93, 0x3e9e377a, v98 :: v_dual_mul_f32 v98, v115, v49
	v_dual_fmac_f32 v144, 0x3e9e377a, v149 :: v_dual_fmac_f32 v103, v112, v44
	s_delay_alu instid0(VALU_DEP_2)
	v_fmac_f32_e32 v98, v116, v48
	ds_store_b64 v177, v[144:145] offset:960
	v_add_lshl_u32 v144, v84, v85, 3
	v_mul_f32_e32 v84, v116, v49
	v_add_f32_e32 v104, v110, v103
	v_sub_f32_e32 v107, v98, v87
	v_fmamk_f32 v94, v166, 0xbf737871, v92
	v_fmac_f32_e32 v92, 0x3f737871, v166
	v_sub_f32_e32 v108, v86, v98
	scratch_store_b32 off, v177, off offset:180 ; 4-byte Folded Spill
	v_fmac_f32_e32 v94, 0x3f167918, v158
	v_fmac_f32_e32 v92, 0xbf167918, v158
	s_delay_alu instid0(VALU_DEP_2) | instskip(NEXT) | instid1(VALU_DEP_2)
	v_fmac_f32_e32 v94, 0x3e9e377a, v97
	v_fmac_f32_e32 v92, 0x3e9e377a, v97
	ds_store_2addr_b64 v177, v[94:95], v[92:93] offset0:60 offset1:90
	v_fma_f32 v94, v115, v48, -v84
	v_mul_f32_e32 v84, v112, v45
	s_delay_alu instid0(VALU_DEP_2) | instskip(NEXT) | instid1(VALU_DEP_2)
	v_sub_f32_e32 v112, v90, v94
	v_fma_f32 v95, v111, v44, -v84
	v_dual_add_f32 v84, v90, v94 :: v_dual_sub_f32 v111, v103, v87
	s_delay_alu instid0(VALU_DEP_2) | instskip(SKIP_1) | instid1(VALU_DEP_3)
	v_add_f32_e32 v85, v95, v91
	v_add_f32_e32 v97, v109, v95
	v_fma_f32 v84, -0.5, v84, v109
	v_sub_f32_e32 v115, v95, v91
	s_delay_alu instid0(VALU_DEP_4) | instskip(SKIP_2) | instid1(VALU_DEP_1)
	v_fma_f32 v109, -0.5, v85, v109
	v_sub_f32_e32 v85, v90, v95
	v_dual_sub_f32 v92, v94, v91 :: v_dual_sub_f32 v95, v95, v90
	v_add_f32_e32 v93, v85, v92
	v_dual_add_f32 v85, v86, v98 :: v_dual_add_f32 v92, v103, v87
	s_delay_alu instid0(VALU_DEP_1) | instskip(NEXT) | instid1(VALU_DEP_2)
	v_fma_f32 v85, -0.5, v85, v110
	v_fmac_f32_e32 v110, -0.5, v92
	v_sub_f32_e32 v92, v86, v103
	s_delay_alu instid0(VALU_DEP_1) | instskip(SKIP_2) | instid1(VALU_DEP_1)
	v_dual_add_f32 v90, v97, v90 :: v_dual_add_f32 v107, v92, v107
	v_fmamk_f32 v92, v108, 0xbf737871, v109
	v_fmac_f32_e32 v109, 0x3f737871, v108
	v_fmac_f32_e32 v109, 0xbf167918, v111
	s_delay_alu instid0(VALU_DEP_1) | instskip(SKIP_2) | instid1(VALU_DEP_2)
	v_fmac_f32_e32 v109, 0x3e9e377a, v93
	v_mul_f32_e32 v119, v135, v71
	v_fmac_f32_e32 v92, 0x3f167918, v111
	v_fma_f32 v119, v134, v70, -v119
	s_delay_alu instid0(VALU_DEP_2) | instskip(SKIP_2) | instid1(VALU_DEP_2)
	v_fmac_f32_e32 v92, 0x3e9e377a, v93
	v_fmamk_f32 v93, v112, 0x3f737871, v110
	v_fmac_f32_e32 v110, 0xbf737871, v112
	v_fmac_f32_e32 v93, 0xbf167918, v115
	s_delay_alu instid0(VALU_DEP_2) | instskip(NEXT) | instid1(VALU_DEP_2)
	v_fmac_f32_e32 v110, 0x3f167918, v115
	v_fmac_f32_e32 v93, 0x3e9e377a, v107
	s_delay_alu instid0(VALU_DEP_2)
	v_dual_fmac_f32 v110, 0x3e9e377a, v107 :: v_dual_mul_f32 v107, v118, v77
	ds_store_2addr_b64 v144, v[92:93], v[109:110] offset0:60 offset1:90
	v_fma_f32 v107, v117, v76, -v107
	v_mul_f32_e32 v109, v117, v77
	v_mul_f32_e32 v117, v133, v79
	v_add_f32_e32 v97, v104, v86
	v_mul_f32_e32 v93, v113, v81
	v_mul_f32_e32 v92, v114, v81
	v_fmac_f32_e32 v109, v118, v76
	v_fma_f32 v117, v132, v78, -v117
	v_add_f32_e32 v90, v90, v94
	v_add_f32_e32 v97, v97, v98
	v_dual_fmac_f32 v93, v114, v80 :: v_dual_mul_f32 v118, v132, v79
	v_sub_f32_e32 v86, v103, v86
	v_sub_f32_e32 v94, v91, v94
	v_add_f32_e32 v90, v90, v91
	v_add_f32_e32 v91, v97, v87
	v_sub_f32_e32 v87, v87, v98
	v_fmac_f32_e32 v118, v133, v78
	s_delay_alu instid0(VALU_DEP_2) | instskip(SKIP_4) | instid1(VALU_DEP_4)
	v_dual_add_f32 v94, v95, v94 :: v_dual_add_f32 v95, v86, v87
	v_fmamk_f32 v87, v115, 0xbf737871, v85
	v_fma_f32 v92, v113, v80, -v92
	v_mul_f32_e32 v113, v128, v83
	v_fmac_f32_e32 v85, 0x3f737871, v115
	v_dual_mul_f32 v110, v129, v83 :: v_dual_fmac_f32 v87, 0xbf167918, v112
	s_delay_alu instid0(VALU_DEP_3) | instskip(NEXT) | instid1(VALU_DEP_3)
	v_dual_mul_f32 v114, v131, v75 :: v_dual_fmac_f32 v113, v129, v82
	v_fmac_f32_e32 v85, 0x3f167918, v112
	v_fmamk_f32 v86, v111, 0x3f737871, v84
	v_fmac_f32_e32 v84, 0xbf737871, v111
	v_fma_f32 v110, v128, v82, -v110
	v_mul_f32_e32 v116, v130, v75
	v_fmac_f32_e32 v85, 0x3e9e377a, v95
	s_delay_alu instid0(VALU_DEP_4) | instskip(SKIP_3) | instid1(VALU_DEP_4)
	v_dual_sub_f32 v103, v113, v109 :: v_dual_fmac_f32 v84, 0xbf167918, v108
	v_fmac_f32_e32 v86, 0x3f167918, v108
	v_sub_f32_e32 v104, v110, v107
	v_dual_fmac_f32 v87, 0x3e9e377a, v95 :: v_dual_sub_f32 v98, v93, v118
	v_fmac_f32_e32 v84, 0x3e9e377a, v94
	s_delay_alu instid0(VALU_DEP_4)
	v_fmac_f32_e32 v86, 0x3e9e377a, v94
	v_fma_f32 v114, v130, v74, -v114
	ds_store_b64 v144, v[84:85] offset:960
	v_dual_sub_f32 v84, v92, v110 :: v_dual_sub_f32 v85, v117, v107
	ds_store_2addr_b64 v144, v[90:91], v[86:87] offset1:30
	v_sub_f32_e32 v86, v93, v113
	v_sub_f32_e32 v87, v118, v109
	v_mad_u16 v90, 0x96, v99, v155
	v_add_f32_e32 v94, v84, v85
	v_dual_add_f32 v85, v113, v109 :: v_dual_fmac_f32 v116, v131, v74
	v_add_f32_e32 v84, v110, v107
	v_add_f32_e32 v95, v86, v87
	v_dual_add_f32 v87, v125, v93 :: v_dual_mul_f32 v128, v134, v71
	s_delay_alu instid0(VALU_DEP_4) | instskip(NEXT) | instid1(VALU_DEP_4)
	v_fma_f32 v85, -0.5, v85, v125
	v_fma_f32 v84, -0.5, v84, v124
	v_sub_f32_e32 v99, v92, v117
	s_delay_alu instid0(VALU_DEP_4) | instskip(SKIP_4) | instid1(VALU_DEP_3)
	v_add_f32_e32 v87, v87, v113
	v_fmac_f32_e32 v128, v135, v70
	v_dual_add_f32 v86, v124, v92 :: v_dual_and_b32 v97, 0xffff, v90
	v_fmamk_f32 v90, v98, 0x3f737871, v84
	v_fmamk_f32 v91, v99, 0xbf737871, v85
	v_dual_fmac_f32 v85, 0x3f737871, v99 :: v_dual_add_f32 v86, v86, v110
	s_delay_alu instid0(VALU_DEP_3) | instskip(NEXT) | instid1(VALU_DEP_3)
	v_dual_add_f32 v87, v87, v109 :: v_dual_fmac_f32 v90, 0x3f167918, v103
	v_fmac_f32_e32 v91, 0xbf167918, v104
	s_delay_alu instid0(VALU_DEP_3) | instskip(NEXT) | instid1(VALU_DEP_3)
	v_dual_fmac_f32 v85, 0x3f167918, v104 :: v_dual_add_f32 v86, v86, v107
	v_dual_add_f32 v87, v87, v118 :: v_dual_lshlrev_b32 v108, 3, v97
	s_delay_alu instid0(VALU_DEP_3) | instskip(NEXT) | instid1(VALU_DEP_3)
	v_dual_fmac_f32 v90, 0x3e9e377a, v94 :: v_dual_fmac_f32 v91, 0x3e9e377a, v95
	v_dual_add_f32 v86, v86, v117 :: v_dual_fmac_f32 v85, 0x3e9e377a, v95
	v_mul_f32_e32 v95, v136, v73
	scratch_store_b32 off, v144, off offset:184 ; 4-byte Folded Spill
	ds_store_2addr_b64 v108, v[86:87], v[90:91] offset1:30
	v_dual_sub_f32 v86, v110, v92 :: v_dual_sub_f32 v87, v107, v117
	v_add_f32_e32 v90, v92, v117
	v_add_f32_e32 v92, v93, v118
	v_sub_f32_e32 v91, v113, v93
	v_sub_f32_e32 v93, v109, v118
	v_add_f32_e32 v97, v86, v87
	v_fma_f32 v86, -0.5, v90, v124
	v_fma_f32 v87, -0.5, v92, v125
	v_fmac_f32_e32 v84, 0xbf737871, v98
	v_dual_add_f32 v92, v91, v93 :: v_dual_fmac_f32 v95, v137, v72
	s_delay_alu instid0(VALU_DEP_4) | instskip(NEXT) | instid1(VALU_DEP_4)
	v_fmamk_f32 v90, v103, 0xbf737871, v86
	v_dual_fmac_f32 v86, 0x3f737871, v103 :: v_dual_fmamk_f32 v91, v104, 0x3f737871, v87
	v_fmac_f32_e32 v87, 0xbf737871, v104
	v_fmac_f32_e32 v84, 0xbf167918, v103
	s_delay_alu instid0(VALU_DEP_4) | instskip(NEXT) | instid1(VALU_DEP_4)
	v_fmac_f32_e32 v90, 0x3f167918, v98
	v_dual_fmac_f32 v86, 0xbf167918, v98 :: v_dual_sub_f32 v103, v95, v128
	v_fmac_f32_e32 v91, 0xbf167918, v99
	v_fmac_f32_e32 v87, 0x3f167918, v99
	;; [unrolled: 1-line block ×3, first 2 shown]
	v_mul_f32_e32 v94, v140, v69
	s_delay_alu instid0(VALU_DEP_4) | instskip(NEXT) | instid1(VALU_DEP_4)
	v_dual_fmac_f32 v90, 0x3e9e377a, v97 :: v_dual_fmac_f32 v91, 0x3e9e377a, v92
	v_fmac_f32_e32 v87, 0x3e9e377a, v92
	ds_store_b64 v108, v[84:85] offset:960
	v_mul_f32_e32 v84, v141, v69
	v_fmac_f32_e32 v94, v141, v68
	v_dual_fmac_f32 v86, 0x3e9e377a, v97 :: v_dual_add_f32 v97, v127, v95
	s_delay_alu instid0(VALU_DEP_2)
	v_dual_mul_f32 v110, v142, v61 :: v_dual_sub_f32 v99, v116, v94
	ds_store_2addr_b64 v108, v[90:91], v[86:87] offset0:60 offset1:90
	v_fma_f32 v91, v140, v68, -v84
	v_mul_f32_e32 v84, v137, v73
	v_sub_f32_e32 v98, v94, v128
	v_mad_u16 v90, 0x96, v153, v156
	v_fmac_f32_e32 v110, v143, v60
	v_sub_f32_e32 v86, v91, v119
	v_fma_f32 v92, v136, v72, -v84
	v_add_f32_e32 v84, v114, v91
	s_delay_alu instid0(VALU_DEP_2) | instskip(SKIP_1) | instid1(VALU_DEP_3)
	v_dual_add_f32 v85, v92, v119 :: v_dual_and_b32 v90, 0xffff, v90
	v_add_f32_e32 v93, v126, v92
	v_fma_f32 v84, -0.5, v84, v126
	v_sub_f32_e32 v107, v92, v119
	s_delay_alu instid0(VALU_DEP_4)
	v_lshlrev_b32_e32 v111, 3, v90
	v_fma_f32 v126, -0.5, v85, v126
	v_dual_sub_f32 v85, v114, v92 :: v_dual_sub_f32 v90, v92, v114
	v_sub_f32_e32 v92, v95, v116
	scratch_store_b32 off, v108, off offset:188 ; 4-byte Folded Spill
	v_add_f32_e32 v87, v85, v86
	v_dual_add_f32 v85, v116, v94 :: v_dual_add_f32 v86, v95, v128
	s_delay_alu instid0(VALU_DEP_1) | instskip(NEXT) | instid1(VALU_DEP_2)
	v_fma_f32 v85, -0.5, v85, v127
	v_dual_fmac_f32 v127, -0.5, v86 :: v_dual_sub_f32 v86, v116, v95
	v_sub_f32_e32 v104, v114, v91
	v_mad_u16 v95, 0x96, v154, v157
	s_delay_alu instid0(VALU_DEP_3) | instskip(SKIP_2) | instid1(VALU_DEP_2)
	v_add_f32_e32 v98, v86, v98
	v_fmamk_f32 v86, v99, 0xbf737871, v126
	v_fmac_f32_e32 v126, 0x3f737871, v99
	v_fmac_f32_e32 v86, 0x3f167918, v103
	s_delay_alu instid0(VALU_DEP_2) | instskip(NEXT) | instid1(VALU_DEP_2)
	v_fmac_f32_e32 v126, 0xbf167918, v103
	v_fmac_f32_e32 v86, 0x3e9e377a, v87
	s_delay_alu instid0(VALU_DEP_2) | instskip(SKIP_2) | instid1(VALU_DEP_2)
	v_fmac_f32_e32 v126, 0x3e9e377a, v87
	v_fmamk_f32 v87, v104, 0x3f737871, v127
	v_fmac_f32_e32 v127, 0xbf737871, v104
	v_fmac_f32_e32 v87, 0xbf167918, v107
	s_delay_alu instid0(VALU_DEP_2) | instskip(NEXT) | instid1(VALU_DEP_2)
	v_fmac_f32_e32 v127, 0x3f167918, v107
	v_fmac_f32_e32 v87, 0x3e9e377a, v98
	s_delay_alu instid0(VALU_DEP_2) | instskip(SKIP_2) | instid1(VALU_DEP_1)
	v_fmac_f32_e32 v127, 0x3e9e377a, v98
	ds_store_2addr_b64 v111, v[86:87], v[126:127] offset0:60 offset1:90
	v_dual_mul_f32 v86, v139, v65 :: v_dual_add_f32 v87, v97, v116
	v_fma_f32 v98, v138, v64, -v86
	v_mul_f32_e32 v86, v106, v67
	s_delay_alu instid0(VALU_DEP_1) | instskip(SKIP_1) | instid1(VALU_DEP_1)
	v_fma_f32 v109, v105, v66, -v86
	v_mul_f32_e32 v105, v105, v67
	v_dual_fmac_f32 v105, v106, v66 :: v_dual_mul_f32 v86, v143, v61
	v_add_f32_e32 v87, v87, v94
	s_delay_alu instid0(VALU_DEP_2) | instskip(SKIP_2) | instid1(VALU_DEP_4)
	v_fma_f32 v106, v142, v60, -v86
	v_add_f32_e32 v86, v93, v114
	v_sub_f32_e32 v93, v128, v94
	v_add_f32_e32 v87, v87, v128
	s_delay_alu instid0(VALU_DEP_3) | instskip(NEXT) | instid1(VALU_DEP_3)
	v_dual_sub_f32 v97, v109, v106 :: v_dual_add_f32 v86, v86, v91
	v_dual_sub_f32 v91, v119, v91 :: v_dual_add_f32 v92, v92, v93
	s_delay_alu instid0(VALU_DEP_2) | instskip(NEXT) | instid1(VALU_DEP_2)
	v_add_f32_e32 v86, v86, v119
	v_add_f32_e32 v94, v90, v91
	v_fmamk_f32 v90, v103, 0x3f737871, v84
	v_dual_fmamk_f32 v91, v107, 0xbf737871, v85 :: v_dual_fmac_f32 v84, 0xbf737871, v103
	v_dual_fmac_f32 v85, 0x3f737871, v107 :: v_dual_mul_f32 v108, v138, v65
	s_delay_alu instid0(VALU_DEP_3) | instskip(NEXT) | instid1(VALU_DEP_3)
	v_fmac_f32_e32 v90, 0x3f167918, v99
	v_fmac_f32_e32 v91, 0xbf167918, v104
	s_delay_alu instid0(VALU_DEP_3) | instskip(NEXT) | instid1(VALU_DEP_2)
	v_fmac_f32_e32 v85, 0x3f167918, v104
	v_dual_fmac_f32 v90, 0x3e9e377a, v94 :: v_dual_fmac_f32 v91, 0x3e9e377a, v92
	s_delay_alu instid0(VALU_DEP_2) | instskip(SKIP_3) | instid1(VALU_DEP_2)
	v_fmac_f32_e32 v85, 0x3e9e377a, v92
	ds_store_2addr_b64 v111, v[86:87], v[90:91] offset1:30
	v_mul_f32_e32 v86, v147, v63
	v_mul_f32_e32 v87, v146, v63
	v_fma_f32 v86, v146, v62, -v86
	v_fmac_f32_e32 v84, 0xbf167918, v99
	v_fmac_f32_e32 v108, v139, v64
	s_delay_alu instid0(VALU_DEP_4) | instskip(NEXT) | instid1(VALU_DEP_4)
	v_fmac_f32_e32 v87, v147, v62
	v_sub_f32_e32 v99, v98, v86
	s_delay_alu instid0(VALU_DEP_4)
	v_fmac_f32_e32 v84, 0x3e9e377a, v94
	v_add_f32_e32 v90, v101, v98
	ds_store_b64 v111, v[84:85] offset:960
	v_add_f32_e32 v84, v109, v106
	v_add_f32_e32 v85, v98, v86
	;; [unrolled: 1-line block ×3, first 2 shown]
	s_delay_alu instid0(VALU_DEP_3) | instskip(NEXT) | instid1(VALU_DEP_3)
	v_fma_f32 v166, -0.5, v84, v101
	v_fma_f32 v101, -0.5, v85, v101
	v_sub_f32_e32 v85, v106, v86
	v_add_f32_e32 v84, v105, v110
	v_dual_sub_f32 v91, v105, v110 :: v_dual_sub_f32 v92, v108, v87
	v_sub_f32_e32 v94, v110, v87
	s_delay_alu instid0(VALU_DEP_3) | instskip(SKIP_1) | instid1(VALU_DEP_1)
	v_fma_f32 v167, -0.5, v84, v102
	v_sub_f32_e32 v84, v109, v98
	v_dual_add_f32 v85, v84, v85 :: v_dual_fmamk_f32 v84, v91, 0xbf737871, v101
	v_fmac_f32_e32 v101, 0x3f737871, v91
	s_delay_alu instid0(VALU_DEP_2) | instskip(NEXT) | instid1(VALU_DEP_2)
	v_fmac_f32_e32 v84, 0x3f167918, v92
	v_fmac_f32_e32 v101, 0xbf167918, v92
	s_delay_alu instid0(VALU_DEP_2) | instskip(NEXT) | instid1(VALU_DEP_2)
	v_fmac_f32_e32 v84, 0x3e9e377a, v85
	v_fmac_f32_e32 v101, 0x3e9e377a, v85
	v_add_f32_e32 v85, v108, v87
	s_delay_alu instid0(VALU_DEP_1) | instskip(NEXT) | instid1(VALU_DEP_1)
	v_dual_fmac_f32 v102, -0.5, v85 :: v_dual_sub_f32 v85, v105, v108
	v_add_f32_e32 v94, v85, v94
	s_delay_alu instid0(VALU_DEP_2) | instskip(SKIP_1) | instid1(VALU_DEP_2)
	v_fmamk_f32 v85, v97, 0x3f737871, v102
	v_fmac_f32_e32 v102, 0xbf737871, v97
	v_fmac_f32_e32 v85, 0xbf167918, v99
	s_delay_alu instid0(VALU_DEP_2) | instskip(NEXT) | instid1(VALU_DEP_2)
	v_fmac_f32_e32 v102, 0x3f167918, v99
	v_fmac_f32_e32 v85, 0x3e9e377a, v94
	s_delay_alu instid0(VALU_DEP_2) | instskip(SKIP_1) | instid1(VALU_DEP_1)
	v_fmac_f32_e32 v102, 0x3e9e377a, v94
	v_and_b32_e32 v94, 0xffff, v95
	v_lshlrev_b32_e32 v94, 3, v94
	s_clause 0x1
	scratch_store_b32 off, v111, off offset:192
	scratch_store_b32 off, v94, off offset:196
	ds_store_2addr_b64 v94, v[84:85], v[101:102] offset0:60 offset1:90
	v_add_f32_e32 v84, v90, v109
	v_add_f32_e32 v85, v93, v105
	v_sub_f32_e32 v90, v98, v109
	v_sub_f32_e32 v93, v86, v106
	s_delay_alu instid0(VALU_DEP_4) | instskip(NEXT) | instid1(VALU_DEP_2)
	v_add_f32_e32 v84, v84, v106
	v_dual_add_f32 v85, v85, v110 :: v_dual_add_f32 v90, v90, v93
	s_delay_alu instid0(VALU_DEP_1) | instskip(SKIP_1) | instid1(VALU_DEP_1)
	v_dual_add_f32 v84, v84, v86 :: v_dual_add_f32 v85, v85, v87
	v_dual_sub_f32 v86, v108, v105 :: v_dual_sub_f32 v87, v87, v110
	v_dual_add_f32 v93, v86, v87 :: v_dual_fmamk_f32 v86, v92, 0x3f737871, v166
	v_dual_fmamk_f32 v87, v99, 0xbf737871, v167 :: v_dual_fmac_f32 v166, 0xbf737871, v92
	v_fmac_f32_e32 v167, 0x3f737871, v99
	s_delay_alu instid0(VALU_DEP_3) | instskip(NEXT) | instid1(VALU_DEP_3)
	v_fmac_f32_e32 v86, 0x3f167918, v91
	v_dual_fmac_f32 v87, 0xbf167918, v97 :: v_dual_fmac_f32 v166, 0xbf167918, v91
	s_delay_alu instid0(VALU_DEP_3) | instskip(NEXT) | instid1(VALU_DEP_2)
	v_fmac_f32_e32 v167, 0x3f167918, v97
	v_dual_fmac_f32 v86, 0x3e9e377a, v90 :: v_dual_fmac_f32 v87, 0x3e9e377a, v93
	s_delay_alu instid0(VALU_DEP_2)
	v_dual_fmac_f32 v166, 0x3e9e377a, v90 :: v_dual_fmac_f32 v167, 0x3e9e377a, v93
	ds_store_2addr_b64 v94, v[84:85], v[86:87] offset1:30
	v_add_nc_u32_e32 v84, 0x2c00, v255
	ds_store_b64 v94, v[166:167] offset:960
	global_wb scope:SCOPE_SE
	s_wait_storecnt_dscnt 0x0
	s_barrier_signal -1
	s_barrier_wait -1
	global_inv scope:SCOPE_SE
	ds_load_2addr_b64 v[112:115], v175 offset0:110 offset1:200
	ds_load_2addr_b64 v[84:87], v84 offset0:92 offset1:182
	;; [unrolled: 1-line block ×11, first 2 shown]
	ds_load_2addr_b64 v[156:159], v255 offset1:90
	s_and_saveexec_b32 s1, s0
	s_cbranch_execz .LBB0_13
; %bb.12:
	ds_load_b64 v[166:167], v255 offset:5760
	ds_load_b64 v[162:163], v255 offset:11760
	;; [unrolled: 1-line block ×3, first 2 shown]
.LBB0_13:
	s_wait_alu 0xfffe
	s_or_b32 exec_lo, exec_lo, s1
	v_add_co_u32 v92, s1, 0xffffffc4, v234
	s_wait_alu 0xf1ff
	v_add_co_ci_u32_e64 v93, null, 0, -1, s1
	v_cmp_gt_u16_e64 s1, 60, v234
	v_lshrrev_b16 v94, 1, v164
	s_wait_alu 0xf1ff
	s_delay_alu instid0(VALU_DEP_2) | instskip(SKIP_1) | instid1(VALU_DEP_3)
	v_cndmask_b32_e64 v169, v93, v96, s1
	v_lshlrev_b32_e32 v96, 4, v234
	v_and_b32_e32 v94, 0xffff, v94
	s_clause 0x1
	global_load_b128 v[104:107], v96, s[2:3] offset:1120
	global_load_b128 v[96:99], v96, s[2:3] offset:1600
	v_mul_u32_u24_e32 v94, 0xda75, v94
	v_cndmask_b32_e64 v168, v92, v171, s1
	s_delay_alu instid0(VALU_DEP_2) | instskip(NEXT) | instid1(VALU_DEP_2)
	v_lshrrev_b32_e32 v178, 22, v94
	v_lshlrev_b64_e32 v[92:93], 4, v[168:169]
	s_delay_alu instid0(VALU_DEP_2) | instskip(NEXT) | instid1(VALU_DEP_2)
	v_mul_lo_u16 v94, 0x96, v178
	v_add_co_u32 v92, s1, s2, v92
	s_wait_alu 0xf1ff
	s_delay_alu instid0(VALU_DEP_3) | instskip(NEXT) | instid1(VALU_DEP_3)
	v_add_co_ci_u32_e64 v93, s1, s3, v93, s1
	v_sub_nc_u16 v179, v164, v94
	s_delay_alu instid0(VALU_DEP_1) | instskip(NEXT) | instid1(VALU_DEP_1)
	v_lshlrev_b16 v94, 4, v179
	v_and_b32_e32 v94, 0xffff, v94
	s_delay_alu instid0(VALU_DEP_1) | instskip(SKIP_4) | instid1(VALU_DEP_1)
	v_add_co_u32 v94, s1, s2, v94
	s_wait_alu 0xf1ff
	v_add_co_ci_u32_e64 v95, null, s3, 0, s1
	s_wait_loadcnt_dscnt 0x10b
	v_mul_f32_e32 v116, v113, v105
	v_fma_f32 v124, v112, v104, -v116
	s_clause 0x1
	global_load_b128 v[116:119], v[92:93], off offset:1120
	global_load_b128 v[92:95], v[94:95], off offset:1120
	v_mul_f32_e32 v112, v112, v105
	s_wait_loadcnt 0x1
	s_delay_alu instid0(VALU_DEP_1) | instskip(NEXT) | instid1(VALU_DEP_1)
	v_dual_fmac_f32 v112, v113, v104 :: v_dual_mul_f32 v113, v115, v117
	v_fma_f32 v169, v114, v116, -v113
	s_wait_dscnt 0xa
	v_mul_f32_e32 v113, v85, v107
	s_delay_alu instid0(VALU_DEP_1) | instskip(SKIP_1) | instid1(VALU_DEP_1)
	v_fma_f32 v113, v84, v106, -v113
	v_mul_f32_e32 v84, v84, v107
	v_dual_sub_f32 v189, v124, v113 :: v_dual_fmac_f32 v84, v85, v106
	v_mul_f32_e32 v85, v87, v119
	s_delay_alu instid0(VALU_DEP_1) | instskip(SKIP_1) | instid1(VALU_DEP_1)
	v_fma_f32 v181, v86, v118, -v85
	v_lshrrev_b16 v85, 1, v121
	v_and_b32_e32 v85, 0xffff, v85
	v_mul_f32_e32 v180, v114, v117
	s_delay_alu instid0(VALU_DEP_2) | instskip(NEXT) | instid1(VALU_DEP_1)
	v_mul_u32_u24_e32 v85, 0xda75, v85
	v_lshrrev_b32_e32 v85, 22, v85
	s_delay_alu instid0(VALU_DEP_1) | instskip(NEXT) | instid1(VALU_DEP_1)
	v_mul_lo_u16 v85, 0x96, v85
	v_sub_nc_u16 v183, v121, v85
	v_lshrrev_b16 v85, 1, v120
	s_delay_alu instid0(VALU_DEP_1) | instskip(NEXT) | instid1(VALU_DEP_1)
	v_and_b32_e32 v85, 0xffff, v85
	v_mul_u32_u24_e32 v85, 0xda75, v85
	s_delay_alu instid0(VALU_DEP_1) | instskip(NEXT) | instid1(VALU_DEP_1)
	v_lshrrev_b32_e32 v184, 22, v85
	v_mul_lo_u16 v85, 0x96, v184
	s_delay_alu instid0(VALU_DEP_1) | instskip(SKIP_1) | instid1(VALU_DEP_1)
	v_sub_nc_u16 v185, v120, v85
	v_lshrrev_b16 v85, 1, v122
	v_and_b32_e32 v85, 0xffff, v85
	s_delay_alu instid0(VALU_DEP_1) | instskip(NEXT) | instid1(VALU_DEP_1)
	v_mul_u32_u24_e32 v85, 0xda75, v85
	v_lshrrev_b32_e32 v85, 22, v85
	s_delay_alu instid0(VALU_DEP_1) | instskip(NEXT) | instid1(VALU_DEP_1)
	v_mul_lo_u16 v85, 0x96, v85
	v_sub_nc_u16 v186, v122, v85
	v_lshrrev_b16 v85, 1, v123
	v_mul_f32_e32 v182, v86, v119
	s_delay_alu instid0(VALU_DEP_2) | instskip(NEXT) | instid1(VALU_DEP_1)
	v_dual_add_f32 v86, v112, v84 :: v_dual_and_b32 v85, 0xffff, v85
	v_mul_u32_u24_e32 v85, 0xda75, v85
	s_delay_alu instid0(VALU_DEP_1) | instskip(NEXT) | instid1(VALU_DEP_1)
	v_lshrrev_b32_e32 v85, 22, v85
	v_mul_lo_u16 v85, 0x96, v85
	s_delay_alu instid0(VALU_DEP_1)
	v_sub_nc_u16 v187, v123, v85
	s_wait_dscnt 0x0
	v_add_f32_e32 v85, v157, v112
	v_fmac_f32_e32 v180, v115, v116
	v_fma_f32 v157, -0.5, v86, v157
	v_sub_f32_e32 v188, v112, v84
	s_delay_alu instid0(VALU_DEP_4) | instskip(SKIP_4) | instid1(VALU_DEP_4)
	v_dual_fmac_f32 v182, v87, v118 :: v_dual_add_f32 v173, v85, v84
	v_add_f32_e32 v84, v156, v124
	v_lshlrev_b16 v85, 4, v183
	v_fmamk_f32 v177, v189, 0xbf5db3d7, v157
	v_fmac_f32_e32 v157, 0x3f5db3d7, v189
	v_add_f32_e32 v172, v84, v113
	v_add_f32_e32 v84, v124, v113
	v_and_b32_e32 v86, 0xffff, v85
	v_lshlrev_b16 v85, 4, v185
	s_delay_alu instid0(VALU_DEP_3) | instskip(SKIP_1) | instid1(VALU_DEP_3)
	v_fma_f32 v156, -0.5, v84, v156
	v_lshrrev_b16 v84, 1, v160
	v_and_b32_e32 v112, 0xffff, v85
	v_lshlrev_b16 v85, 4, v186
	s_delay_alu instid0(VALU_DEP_4) | instskip(NEXT) | instid1(VALU_DEP_4)
	v_fmamk_f32 v176, v188, 0x3f5db3d7, v156
	v_and_b32_e32 v84, 0xffff, v84
	v_fmac_f32_e32 v156, 0xbf5db3d7, v188
	s_delay_alu instid0(VALU_DEP_4) | instskip(SKIP_1) | instid1(VALU_DEP_4)
	v_and_b32_e32 v114, 0xffff, v85
	v_lshlrev_b16 v85, 4, v187
	v_mul_u32_u24_e32 v84, 0xda75, v84
	s_delay_alu instid0(VALU_DEP_2) | instskip(NEXT) | instid1(VALU_DEP_2)
	v_and_b32_e32 v120, 0xffff, v85
	v_lshrrev_b32_e32 v84, 22, v84
	s_delay_alu instid0(VALU_DEP_1) | instskip(NEXT) | instid1(VALU_DEP_1)
	v_mul_lo_u16 v84, 0x96, v84
	v_sub_nc_u16 v190, v160, v84
	s_delay_alu instid0(VALU_DEP_1) | instskip(NEXT) | instid1(VALU_DEP_1)
	v_lshlrev_b16 v84, 4, v190
	v_and_b32_e32 v84, 0xffff, v84
	s_delay_alu instid0(VALU_DEP_1)
	v_add_co_u32 v84, s1, s2, v84
	s_wait_alu 0xf1ff
	v_add_co_ci_u32_e64 v85, null, s3, 0, s1
	v_add_co_u32 v86, s1, s2, v86
	s_wait_alu 0xf1ff
	v_add_co_ci_u32_e64 v87, null, s3, 0, s1
	;; [unrolled: 3-line block ×5, first 2 shown]
	s_clause 0x4
	global_load_b128 v[128:131], v[84:85], off offset:1120
	global_load_b128 v[124:127], v[86:87], off offset:1120
	;; [unrolled: 1-line block ×5, first 2 shown]
	v_cmp_lt_u16_e64 s1, 59, v234
	global_wb scope:SCOPE_SE
	s_wait_loadcnt 0x0
	s_barrier_signal -1
	s_barrier_wait -1
	global_inv scope:SCOPE_SE
	ds_store_2addr_b64 v255, v[172:173], v[176:177] offset1:150
	s_wait_alu 0xf1ff
	v_cndmask_b32_e64 v172, 0, 0x1c2, s1
	ds_store_b64 v255, v[156:157] offset:2400
	v_dual_add_f32 v156, v159, v180 :: v_dual_add_f32 v173, v169, v181
	v_sub_f32_e32 v174, v169, v181
	v_add_lshl_u32 v175, v168, v172, 3
	v_add_f32_e32 v168, v180, v182
	v_sub_f32_e32 v172, v180, v182
	v_dual_add_f32 v157, v156, v182 :: v_dual_add_f32 v156, v158, v169
	v_fma_f32 v158, -0.5, v173, v158
	s_delay_alu instid0(VALU_DEP_2) | instskip(NEXT) | instid1(VALU_DEP_2)
	v_dual_fmac_f32 v159, -0.5, v168 :: v_dual_add_f32 v156, v156, v181
	v_fmamk_f32 v168, v172, 0x3f5db3d7, v158
	s_delay_alu instid0(VALU_DEP_2) | instskip(SKIP_3) | instid1(VALU_DEP_1)
	v_fmamk_f32 v169, v174, 0xbf5db3d7, v159
	v_fmac_f32_e32 v159, 0x3f5db3d7, v174
	ds_store_2addr_b64 v175, v[156:157], v[168:169] offset1:150
	v_mul_f32_e32 v156, v153, v97
	v_fma_f32 v156, v152, v96, -v156
	v_mul_f32_e32 v152, v152, v97
	s_delay_alu instid0(VALU_DEP_1) | instskip(NEXT) | instid1(VALU_DEP_1)
	v_dual_fmac_f32 v152, v153, v96 :: v_dual_mul_f32 v153, v148, v99
	v_fmac_f32_e32 v153, v149, v98
	v_mul_f32_e32 v149, v149, v99
	s_delay_alu instid0(VALU_DEP_1)
	v_fma_f32 v157, v148, v98, -v149
	v_fmac_f32_e32 v158, 0xbf5db3d7, v172
	v_add_f32_e32 v148, v145, v152
	v_add_nc_u32_e32 v172, 0xc00, v255
	ds_store_b64 v175, v[158:159] offset:2400
	v_sub_f32_e32 v158, v152, v153
	v_add_f32_e32 v152, v152, v153
	v_add_f32_e32 v149, v148, v153
	;; [unrolled: 1-line block ×4, first 2 shown]
	v_sub_f32_e32 v156, v156, v157
	v_fma_f32 v145, -0.5, v152, v145
	s_delay_alu instid0(VALU_DEP_4) | instskip(NEXT) | instid1(VALU_DEP_4)
	v_fma_f32 v144, -0.5, v153, v144
	v_add_f32_e32 v148, v148, v157
	s_delay_alu instid0(VALU_DEP_3) | instskip(NEXT) | instid1(VALU_DEP_3)
	v_fmamk_f32 v153, v156, 0xbf5db3d7, v145
	v_dual_fmac_f32 v145, 0x3f5db3d7, v156 :: v_dual_fmamk_f32 v152, v158, 0x3f5db3d7, v144
	v_fmac_f32_e32 v144, 0xbf5db3d7, v158
	ds_store_2addr_b64 v172, v[148:149], v[152:153] offset0:96 offset1:246
	v_dual_mul_f32 v149, v154, v93 :: v_dual_mul_f32 v152, v151, v95
	v_mul_f32_e32 v148, v155, v93
	ds_store_b64 v255, v[144:145] offset:6240
	v_fmac_f32_e32 v149, v155, v92
	v_fma_f32 v152, v150, v94, -v152
	v_mul_f32_e32 v150, v150, v95
	v_fma_f32 v148, v154, v92, -v148
	s_delay_alu instid0(VALU_DEP_4) | instskip(NEXT) | instid1(VALU_DEP_3)
	v_add_f32_e32 v144, v147, v149
	v_fmac_f32_e32 v150, v151, v94
	v_mad_u16 v151, 0x1c2, v178, v179
	s_delay_alu instid0(VALU_DEP_2) | instskip(SKIP_2) | instid1(VALU_DEP_2)
	v_sub_f32_e32 v153, v149, v150
	v_add_f32_e32 v149, v149, v150
	v_dual_add_f32 v145, v144, v150 :: v_dual_add_f32 v144, v146, v148
	v_dual_add_f32 v150, v148, v152 :: v_dual_fmac_f32 v147, -0.5, v149
	s_delay_alu instid0(VALU_DEP_2) | instskip(SKIP_1) | instid1(VALU_DEP_3)
	v_add_f32_e32 v144, v144, v152
	v_sub_f32_e32 v152, v148, v152
	v_fma_f32 v146, -0.5, v150, v146
	v_and_b32_e32 v148, 0xffff, v151
	s_delay_alu instid0(VALU_DEP_3) | instskip(SKIP_1) | instid1(VALU_DEP_3)
	v_fmamk_f32 v149, v152, 0xbf5db3d7, v147
	v_fmac_f32_e32 v147, 0x3f5db3d7, v152
	v_lshlrev_b32_e32 v150, 3, v148
	v_fmamk_f32 v148, v153, 0x3f5db3d7, v146
	v_fmac_f32_e32 v146, 0xbf5db3d7, v153
	ds_store_2addr_b64 v150, v[144:145], v[148:149] offset1:150
	ds_store_b64 v150, v[146:147] offset:2400
	v_mul_f32_e32 v144, v141, v129
	s_delay_alu instid0(VALU_DEP_1) | instskip(SKIP_1) | instid1(VALU_DEP_1)
	v_fma_f32 v144, v140, v128, -v144
	v_mul_f32_e32 v140, v140, v129
	v_dual_fmac_f32 v140, v141, v128 :: v_dual_mul_f32 v141, v136, v131
	s_delay_alu instid0(VALU_DEP_1) | instskip(NEXT) | instid1(VALU_DEP_1)
	v_fmac_f32_e32 v141, v137, v130
	v_dual_mul_f32 v137, v137, v131 :: v_dual_sub_f32 v146, v140, v141
	s_delay_alu instid0(VALU_DEP_1) | instskip(SKIP_2) | instid1(VALU_DEP_2)
	v_fma_f32 v145, v136, v130, -v137
	v_add_f32_e32 v136, v101, v140
	v_add_f32_e32 v140, v140, v141
	;; [unrolled: 1-line block ×3, first 2 shown]
	s_delay_alu instid0(VALU_DEP_4) | instskip(NEXT) | instid1(VALU_DEP_3)
	v_add_f32_e32 v141, v144, v145
	v_fma_f32 v101, -0.5, v140, v101
	v_and_b32_e32 v140, 0xffff, v190
	v_add_f32_e32 v136, v100, v144
	v_sub_f32_e32 v144, v144, v145
	v_fma_f32 v100, -0.5, v141, v100
	s_delay_alu instid0(VALU_DEP_3) | instskip(NEXT) | instid1(VALU_DEP_3)
	v_dual_add_f32 v136, v136, v145 :: v_dual_lshlrev_b32 v147, 3, v140
	v_fmamk_f32 v141, v144, 0xbf5db3d7, v101
	s_delay_alu instid0(VALU_DEP_3) | instskip(SKIP_1) | instid1(VALU_DEP_4)
	v_fmamk_f32 v140, v146, 0x3f5db3d7, v100
	v_fmac_f32_e32 v100, 0xbf5db3d7, v146
	v_add_nc_u32_e32 v145, 0x1c00, v147
	v_fmac_f32_e32 v101, 0x3f5db3d7, v144
	scratch_store_b32 off, v147, off offset:208 ; 4-byte Folded Spill
	ds_store_2addr_b64 v145, v[136:137], v[140:141] offset0:4 offset1:154
	v_dual_mul_f32 v136, v143, v125 :: v_dual_mul_f32 v137, v138, v127
	ds_store_b64 v147, v[100:101] offset:9600
	v_fma_f32 v140, v142, v124, -v136
	v_dual_mul_f32 v136, v142, v125 :: v_dual_fmac_f32 v137, v139, v126
	v_mul_f32_e32 v139, v139, v127
	s_delay_alu instid0(VALU_DEP_2) | instskip(NEXT) | instid1(VALU_DEP_2)
	v_fmac_f32_e32 v136, v143, v124
	v_fma_f32 v138, v138, v126, -v139
	s_delay_alu instid0(VALU_DEP_2) | instskip(SKIP_2) | instid1(VALU_DEP_3)
	v_add_f32_e32 v139, v103, v136
	v_sub_f32_e32 v141, v136, v137
	v_add_f32_e32 v142, v136, v137
	v_dual_add_f32 v136, v102, v140 :: v_dual_add_f32 v137, v139, v137
	v_add_f32_e32 v139, v140, v138
	v_sub_f32_e32 v140, v140, v138
	s_delay_alu instid0(VALU_DEP_3) | instskip(SKIP_1) | instid1(VALU_DEP_4)
	v_add_f32_e32 v136, v136, v138
	v_dual_fmac_f32 v103, -0.5, v142 :: v_dual_and_b32 v138, 0xffff, v183
	v_fma_f32 v102, -0.5, v139, v102
	s_delay_alu instid0(VALU_DEP_2) | instskip(NEXT) | instid1(VALU_DEP_3)
	v_lshlrev_b32_e32 v143, 3, v138
	v_fmamk_f32 v139, v140, 0xbf5db3d7, v103
	s_delay_alu instid0(VALU_DEP_3)
	v_fmamk_f32 v138, v141, 0x3f5db3d7, v102
	v_fmac_f32_e32 v102, 0xbf5db3d7, v141
	v_fmac_f32_e32 v103, 0x3f5db3d7, v140
	v_add_nc_u32_e32 v142, 0x2800, v143
	ds_store_b64 v143, v[102:103] offset:13200
	ds_store_2addr_b64 v142, v[136:137], v[138:139] offset0:70 offset1:220
	v_mul_f32_e32 v136, v133, v121
	v_mad_u16 v102, 0x1c2, v184, v185
	s_delay_alu instid0(VALU_DEP_2) | instskip(SKIP_1) | instid1(VALU_DEP_3)
	v_fma_f32 v136, v132, v120, -v136
	v_mul_f32_e32 v132, v132, v121
	v_and_b32_e32 v102, 0xffff, v102
	s_delay_alu instid0(VALU_DEP_2) | instskip(NEXT) | instid1(VALU_DEP_1)
	v_dual_fmac_f32 v132, v133, v120 :: v_dual_mul_f32 v133, v135, v113
	v_add_f32_e32 v100, v89, v132
	s_delay_alu instid0(VALU_DEP_2) | instskip(SKIP_1) | instid1(VALU_DEP_1)
	v_fma_f32 v133, v134, v112, -v133
	v_mul_f32_e32 v134, v134, v113
	v_dual_fmac_f32 v134, v135, v112 :: v_dual_mul_f32 v135, v109, v123
	s_delay_alu instid0(VALU_DEP_1) | instskip(SKIP_1) | instid1(VALU_DEP_1)
	v_fma_f32 v135, v108, v122, -v135
	v_mul_f32_e32 v108, v108, v123
	v_dual_fmac_f32 v108, v109, v122 :: v_dual_mul_f32 v109, v111, v115
	s_delay_alu instid0(VALU_DEP_1) | instskip(NEXT) | instid1(VALU_DEP_2)
	v_add_f32_e32 v103, v132, v108
	v_fma_f32 v109, v110, v114, -v109
	v_dual_mul_f32 v110, v110, v115 :: v_dual_add_f32 v101, v100, v108
	v_add_f32_e32 v100, v88, v136
	s_delay_alu instid0(VALU_DEP_4) | instskip(NEXT) | instid1(VALU_DEP_3)
	v_fma_f32 v89, -0.5, v103, v89
	v_dual_fmac_f32 v110, v111, v114 :: v_dual_sub_f32 v111, v132, v108
	v_add_f32_e32 v108, v136, v135
	v_sub_f32_e32 v132, v136, v135
	v_add_f32_e32 v100, v100, v135
	s_delay_alu instid0(VALU_DEP_3) | instskip(NEXT) | instid1(VALU_DEP_3)
	v_fma_f32 v88, -0.5, v108, v88
	v_dual_fmamk_f32 v103, v132, 0xbf5db3d7, v89 :: v_dual_lshlrev_b32 v108, 3, v102
	v_fmac_f32_e32 v89, 0x3f5db3d7, v132
	s_clause 0x1
	scratch_store_b32 off, v175, off offset:200
	scratch_store_b32 off, v150, off offset:204
	v_fmamk_f32 v102, v111, 0x3f5db3d7, v88
	v_fmac_f32_e32 v88, 0xbf5db3d7, v111
	scratch_store_b32 off, v143, off offset:212 ; 4-byte Folded Spill
	ds_store_2addr_b64 v108, v[100:101], v[102:103] offset1:150
	ds_store_b64 v108, v[88:89] offset:2400
	v_add_f32_e32 v88, v91, v134
	v_dual_add_f32 v100, v134, v110 :: v_dual_add_f32 v101, v133, v109
	v_dual_sub_f32 v102, v134, v110 :: v_dual_sub_f32 v103, v133, v109
	s_delay_alu instid0(VALU_DEP_3) | instskip(NEXT) | instid1(VALU_DEP_3)
	v_dual_add_f32 v89, v88, v110 :: v_dual_add_f32 v88, v90, v133
	v_dual_fmac_f32 v91, -0.5, v100 :: v_dual_and_b32 v100, 0xffff, v186
	s_delay_alu instid0(VALU_DEP_4) | instskip(NEXT) | instid1(VALU_DEP_2)
	v_fma_f32 v90, -0.5, v101, v90
	v_dual_add_f32 v88, v88, v109 :: v_dual_fmamk_f32 v101, v103, 0xbf5db3d7, v91
	s_delay_alu instid0(VALU_DEP_3)
	v_lshlrev_b32_e32 v109, 3, v100
	scratch_store_b32 off, v108, off offset:216 ; 4-byte Folded Spill
	v_fmamk_f32 v100, v102, 0x3f5db3d7, v90
	v_fmac_f32_e32 v90, 0xbf5db3d7, v102
	v_fmac_f32_e32 v91, 0x3f5db3d7, v103
	scratch_store_b32 off, v109, off offset:224 ; 4-byte Folded Spill
	v_add_nc_u32_e32 v108, 0x3800, v109
	ds_store_b64 v109, v[90:91] offset:16800
	v_mul_f32_e32 v91, v162, v85
	ds_store_2addr_b64 v108, v[88:89], v[100:101] offset0:8 offset1:158
	v_dual_mul_f32 v88, v163, v85 :: v_dual_mul_f32 v89, v5, v87
	v_dual_mul_f32 v90, v4, v87 :: v_dual_fmac_f32 v91, v163, v84
	s_delay_alu instid0(VALU_DEP_2) | instskip(NEXT) | instid1(VALU_DEP_3)
	v_fma_f32 v88, v162, v84, -v88
	v_fma_f32 v89, v4, v86, -v89
	s_delay_alu instid0(VALU_DEP_3) | instskip(NEXT) | instid1(VALU_DEP_1)
	v_fmac_f32_e32 v90, v5, v86
	v_dual_add_f32 v4, v88, v89 :: v_dual_add_f32 v5, v91, v90
	v_sub_f32_e32 v100, v91, v90
	s_delay_alu instid0(VALU_DEP_2) | instskip(NEXT) | instid1(VALU_DEP_3)
	v_fma_f32 v4, -0.5, v4, v166
	v_fma_f32 v5, -0.5, v5, v167
	s_delay_alu instid0(VALU_DEP_2) | instskip(SKIP_2) | instid1(VALU_DEP_1)
	v_fmamk_f32 v162, v100, 0x3f5db3d7, v4
	v_fmac_f32_e32 v4, 0xbf5db3d7, v100
	v_sub_f32_e32 v100, v88, v89
	v_fmamk_f32 v163, v100, 0xbf5db3d7, v5
	v_fmac_f32_e32 v5, 0x3f5db3d7, v100
	v_and_b32_e32 v100, 0xffff, v187
	scratch_store_b32 off, v100, off offset:220 ; 4-byte Folded Spill
	s_and_saveexec_b32 s1, s0
	s_cbranch_execz .LBB0_15
; %bb.14:
	scratch_load_b32 v100, off, off offset:220 ; 4-byte Folded Reload
	v_dual_add_f32 v91, v167, v91 :: v_dual_add_f32 v88, v166, v88
	s_delay_alu instid0(VALU_DEP_1) | instskip(SKIP_2) | instid1(VALU_DEP_1)
	v_dual_add_f32 v90, v91, v90 :: v_dual_add_f32 v89, v88, v89
	s_wait_loadcnt 0x0
	v_lshlrev_b32_e32 v100, 3, v100
	v_add_nc_u32_e32 v88, 0x3800, v100
	ds_store_2addr_b64 v88, v[89:90], v[162:163] offset0:8 offset1:158
	ds_store_b64 v100, v[4:5] offset:16800
.LBB0_15:
	s_wait_alu 0xfffe
	s_or_b32 exec_lo, exec_lo, s1
	v_lshlrev_b32_e32 v100, 5, v234
	v_lshlrev_b32_e32 v132, 5, v171
	global_wb scope:SCOPE_SE
	s_wait_storecnt_dscnt 0x0
	s_barrier_signal -1
	s_barrier_wait -1
	global_inv scope:SCOPE_SE
	s_clause 0x3
	global_load_b128 v[108:111], v100, s[2:3] offset:3520
	global_load_b128 v[88:91], v132, s[2:3] offset:3520
	;; [unrolled: 1-line block ×4, first 2 shown]
	v_add_nc_u32_e32 v174, 0x1800, v255
	v_add_nc_u32_e32 v175, 0x1000, v255
	;; [unrolled: 1-line block ×5, first 2 shown]
	ds_load_2addr_b64 v[136:139], v174 offset0:132 offset1:222
	v_add_nc_u32_e32 v179, 0x800, v255
	s_wait_loadcnt_dscnt 0x300
	v_mul_f32_e32 v180, v136, v111
	v_add_nc_u32_e32 v173, 0x3800, v255
	v_mul_f32_e32 v144, v137, v111
	s_wait_loadcnt 0x2
	s_delay_alu instid0(VALU_DEP_3)
	v_dual_mul_f32 v145, v139, v91 :: v_dual_fmac_f32 v180, v137, v110
	ds_load_2addr_b64 v[140:143], v173 offset0:8 offset1:98
	v_fma_f32 v195, v136, v110, -v144
	v_fma_f32 v185, v138, v90, -v145
	s_wait_loadcnt_dscnt 0x100
	v_mul_f32_e32 v136, v141, v103
	v_mul_f32_e32 v190, v140, v103
	s_wait_loadcnt 0x0
	v_mul_f32_e32 v137, v143, v135
	v_mul_f32_e32 v159, v142, v135
	v_fma_f32 v196, v140, v102, -v136
	v_lshlrev_b32_e32 v136, 5, v170
	v_fmac_f32_e32 v190, v141, v102
	v_fma_f32 v186, v142, v134, -v137
	v_fmac_f32_e32 v159, v143, v134
	ds_load_2addr_b64 v[142:145], v175 offset0:28 offset1:118
	v_mul_f32_e32 v158, v138, v91
	v_add_nc_u32_e32 v178, 0x2400, v255
	s_delay_alu instid0(VALU_DEP_2) | instskip(SKIP_3) | instid1(VALU_DEP_2)
	v_fmac_f32_e32 v158, v139, v90
	s_wait_dscnt 0x0
	v_mul_f32_e32 v137, v143, v89
	v_mul_f32_e32 v187, v142, v89
	v_fma_f32 v188, v142, v88, -v137
	s_delay_alu instid0(VALU_DEP_2)
	v_fmac_f32_e32 v187, v143, v88
	s_clause 0x1
	global_load_b128 v[140:143], v136, s[2:3] offset:3520
	global_load_b128 v[136:139], v136, s[2:3] offset:3536
	ds_load_2addr_b64 v[150:153], v177 offset0:56 offset1:146
	s_wait_loadcnt 0x1
	v_dual_add_f32 v221, v187, v159 :: v_dual_mul_f32 v146, v145, v141
	s_wait_dscnt 0x0
	v_dual_mul_f32 v157, v144, v141 :: v_dual_mul_f32 v184, v150, v143
	s_delay_alu instid0(VALU_DEP_2) | instskip(NEXT) | instid1(VALU_DEP_2)
	v_fma_f32 v156, v144, v140, -v146
	v_fmac_f32_e32 v157, v145, v140
	ds_load_2addr_b64 v[144:147], v176 offset0:160 offset1:250
	v_fmac_f32_e32 v184, v151, v142
	s_wait_dscnt 0x0
	v_mul_f32_e32 v148, v145, v133
	v_mul_f32_e32 v189, v144, v133
	s_wait_loadcnt 0x0
	v_mul_f32_e32 v182, v146, v137
	s_delay_alu instid0(VALU_DEP_3) | instskip(NEXT) | instid1(VALU_DEP_3)
	v_fma_f32 v191, v144, v132, -v148
	v_dual_mul_f32 v144, v147, v137 :: v_dual_fmac_f32 v189, v145, v132
	s_delay_alu instid0(VALU_DEP_3) | instskip(NEXT) | instid1(VALU_DEP_2)
	v_fmac_f32_e32 v182, v147, v136
	v_fma_f32 v181, v146, v136, -v144
	v_lshlrev_b64_e32 v[144:145], 5, v[164:165]
	s_delay_alu instid0(VALU_DEP_1) | instskip(SKIP_1) | instid1(VALU_DEP_2)
	v_add_co_u32 v148, s1, s2, v144
	s_wait_alu 0xf1ff
	v_add_co_ci_u32_e64 v149, s1, s3, v145, s1
	v_mul_f32_e32 v144, v151, v143
	s_delay_alu instid0(VALU_DEP_1)
	v_fma_f32 v183, v150, v142, -v144
	s_clause 0x1
	global_load_b128 v[144:147], v[148:149], off offset:3520
	global_load_b128 v[148:151], v[148:149], off offset:3536
	ds_load_2addr_b64 v[168:171], v178 offset0:108 offset1:198
	v_sub_f32_e32 v224, v183, v181
	s_wait_loadcnt 0x1
	v_mul_f32_e32 v154, v153, v147
	v_mul_f32_e32 v192, v152, v147
	s_delay_alu instid0(VALU_DEP_2) | instskip(NEXT) | instid1(VALU_DEP_2)
	v_fma_f32 v193, v152, v146, -v154
	v_fmac_f32_e32 v192, v153, v146
	ds_load_2addr_b64 v[152:155], v194 offset0:60 offset1:150
	s_wait_dscnt 0x0
	v_mul_f32_e32 v164, v153, v139
	v_mul_f32_e32 v200, v152, v139
	s_wait_loadcnt 0x0
	v_mul_f32_e32 v197, v154, v151
	s_delay_alu instid0(VALU_DEP_3) | instskip(SKIP_3) | instid1(VALU_DEP_2)
	v_fma_f32 v199, v152, v138, -v164
	ds_load_2addr_b64 v[164:167], v179 offset0:104 offset1:194
	v_mul_f32_e32 v152, v155, v151
	v_fmac_f32_e32 v197, v155, v150
	v_fma_f32 v198, v154, v150, -v152
	s_wait_dscnt 0x0
	v_mul_f32_e32 v152, v167, v109
	s_delay_alu instid0(VALU_DEP_1) | instskip(NEXT) | instid1(VALU_DEP_1)
	v_fma_f32 v201, v166, v108, -v152
	v_dual_mul_f32 v152, v171, v101 :: v_dual_sub_f32 v203, v201, v195
	s_delay_alu instid0(VALU_DEP_1) | instskip(NEXT) | instid1(VALU_DEP_1)
	v_fma_f32 v202, v170, v100, -v152
	v_dual_mul_f32 v170, v170, v101 :: v_dual_sub_f32 v205, v196, v202
	v_fmac_f32_e32 v200, v153, v138
	ds_load_2addr_b64 v[152:155], v255 offset1:90
	v_dual_fmac_f32 v170, v171, v100 :: v_dual_mul_f32 v171, v166, v109
	v_dual_sub_f32 v207, v195, v202 :: v_dual_sub_f32 v208, v201, v196
	v_add_f32_e32 v213, v203, v205
	s_delay_alu instid0(VALU_DEP_3) | instskip(NEXT) | instid1(VALU_DEP_4)
	v_sub_f32_e32 v209, v180, v170
	v_dual_fmac_f32 v171, v167, v108 :: v_dual_sub_f32 v212, v190, v170
	v_add_f32_e32 v204, v195, v202
	v_sub_f32_e32 v222, v189, v159
	s_delay_alu instid0(VALU_DEP_3) | instskip(NEXT) | instid1(VALU_DEP_1)
	v_sub_f32_e32 v206, v171, v180
	v_dual_add_f32 v211, v171, v190 :: v_dual_add_f32 v212, v206, v212
	v_sub_f32_e32 v210, v171, v190
	s_wait_dscnt 0x0
	v_dual_add_f32 v166, v152, v201 :: v_dual_add_f32 v167, v153, v171
	v_dual_sub_f32 v220, v158, v189 :: v_dual_sub_f32 v223, v184, v182
	s_delay_alu instid0(VALU_DEP_2) | instskip(SKIP_1) | instid1(VALU_DEP_2)
	v_dual_add_f32 v166, v166, v195 :: v_dual_add_f32 v167, v167, v180
	v_sub_f32_e32 v195, v195, v201
	v_dual_add_f32 v201, v201, v196 :: v_dual_add_f32 v166, v166, v202
	s_delay_alu instid0(VALU_DEP_3) | instskip(NEXT) | instid1(VALU_DEP_2)
	v_dual_sub_f32 v202, v202, v196 :: v_dual_add_f32 v167, v167, v170
	v_add_f32_e32 v166, v166, v196
	v_add_f32_e32 v196, v180, v170
	s_delay_alu instid0(VALU_DEP_3) | instskip(SKIP_2) | instid1(VALU_DEP_4)
	v_dual_sub_f32 v180, v180, v171 :: v_dual_add_f32 v167, v167, v190
	v_sub_f32_e32 v190, v170, v190
	v_fma_f32 v170, -0.5, v204, v152
	v_fma_f32 v171, -0.5, v196, v153
	;; [unrolled: 1-line block ×4, first 2 shown]
	s_delay_alu instid0(VALU_DEP_2) | instskip(SKIP_4) | instid1(VALU_DEP_4)
	v_fmamk_f32 v206, v207, 0x3f737871, v153
	v_fmac_f32_e32 v153, 0xbf737871, v207
	v_fmamk_f32 v196, v208, 0xbf737871, v171
	v_dual_fmac_f32 v171, 0x3f737871, v208 :: v_dual_add_f32 v190, v180, v190
	v_fmamk_f32 v205, v209, 0xbf737871, v152
	v_fmac_f32_e32 v153, 0x3f167918, v208
	s_delay_alu instid0(VALU_DEP_4) | instskip(NEXT) | instid1(VALU_DEP_4)
	v_fmac_f32_e32 v196, 0xbf167918, v207
	v_fmac_f32_e32 v171, 0x3f167918, v207
	;; [unrolled: 1-line block ×5, first 2 shown]
	v_add_f32_e32 v211, v195, v202
	v_fmac_f32_e32 v171, 0x3e9e377a, v212
	v_fmamk_f32 v195, v210, 0x3f737871, v170
	v_fmac_f32_e32 v170, 0xbf737871, v210
	v_fmac_f32_e32 v205, 0x3f167918, v210
	v_fmac_f32_e32 v196, 0x3e9e377a, v212
	v_add_nc_u32_e32 v180, 0x400, v255
	v_fmac_f32_e32 v195, 0x3f167918, v209
	v_fmac_f32_e32 v170, 0xbf167918, v209
	;; [unrolled: 1-line block ×4, first 2 shown]
	ds_load_2addr_b64 v[201:204], v180 offset0:52 offset1:142
	v_fmac_f32_e32 v195, 0x3e9e377a, v213
	v_fmac_f32_e32 v170, 0x3e9e377a, v213
	v_add_nc_u32_e32 v213, 0x1400, v255
	v_fmac_f32_e32 v206, 0x3e9e377a, v190
	v_add_nc_u32_e32 v190, 0x3000, v255
	ds_store_b64 v255, v[195:196] offset:3600
	v_sub_f32_e32 v196, v158, v187
	v_fmac_f32_e32 v152, 0x3e9e377a, v211
	ds_store_b64 v255, v[205:206] offset:7200
	ds_store_b64 v255, v[152:153] offset:10800
	;; [unrolled: 1-line block ×3, first 2 shown]
	v_add_f32_e32 v153, v155, v187
	v_dual_sub_f32 v195, v185, v191 :: v_dual_add_f32 v152, v154, v188
	ds_load_b64 v[170:171], v255 offset:17280
	ds_load_2addr_b64 v[205:208], v213 offset0:80 offset1:170
	ds_load_2addr_b64 v[209:212], v190 offset0:84 offset1:174
	v_dual_add_f32 v153, v153, v158 :: v_dual_add_f32 v152, v152, v185
	s_delay_alu instid0(VALU_DEP_1) | instskip(NEXT) | instid1(VALU_DEP_1)
	v_dual_add_f32 v153, v153, v189 :: v_dual_add_f32 v152, v152, v191
	v_dual_add_f32 v153, v153, v159 :: v_dual_add_f32 v152, v152, v186
	ds_store_2addr_b64 v255, v[166:167], v[152:153] offset1:90
	v_add_f32_e32 v152, v185, v191
	v_dual_sub_f32 v153, v185, v188 :: v_dual_sub_f32 v166, v188, v185
	v_add_f32_e32 v167, v188, v186
	v_sub_f32_e32 v185, v188, v186
	v_sub_f32_e32 v188, v191, v186
	v_sub_f32_e32 v186, v186, v191
	v_add_f32_e32 v191, v158, v189
	v_fma_f32 v152, -0.5, v152, v154
	v_fma_f32 v154, -0.5, v167, v154
	v_add_f32_e32 v188, v153, v188
	s_delay_alu instid0(VALU_DEP_4) | instskip(SKIP_1) | instid1(VALU_DEP_2)
	v_fma_f32 v153, -0.5, v191, v155
	v_fmac_f32_e32 v155, -0.5, v221
	v_dual_fmamk_f32 v167, v185, 0xbf737871, v153 :: v_dual_sub_f32 v158, v187, v158
	v_sub_f32_e32 v187, v187, v159
	v_sub_f32_e32 v159, v159, v189
	v_add_f32_e32 v189, v196, v222
	s_delay_alu instid0(VALU_DEP_4) | instskip(NEXT) | instid1(VALU_DEP_3)
	v_fmac_f32_e32 v167, 0xbf167918, v195
	v_dual_fmac_f32 v153, 0x3f737871, v185 :: v_dual_add_f32 v196, v158, v159
	v_fmamk_f32 v159, v195, 0x3f737871, v155
	v_fmamk_f32 v158, v220, 0xbf737871, v154
	v_fmac_f32_e32 v154, 0x3f737871, v220
	v_fmac_f32_e32 v155, 0xbf737871, v195
	;; [unrolled: 1-line block ×9, first 2 shown]
	v_dual_add_f32 v191, v166, v186 :: v_dual_fmamk_f32 v166, v187, 0x3f737871, v152
	v_fmac_f32_e32 v152, 0xbf737871, v187
	v_dual_fmac_f32 v154, 0x3e9e377a, v188 :: v_dual_fmac_f32 v155, 0x3e9e377a, v189
	v_fmac_f32_e32 v158, 0x3e9e377a, v188
	v_add_nc_u32_e32 v185, 0x2c00, v255
	s_delay_alu instid0(VALU_DEP_4) | instskip(NEXT) | instid1(VALU_DEP_1)
	v_fmac_f32_e32 v152, 0xbf167918, v220
	v_fmac_f32_e32 v152, 0x3e9e377a, v191
	ds_store_b64 v255, v[154:155] offset:11520
	ds_store_b64 v255, v[158:159] offset:7920
	;; [unrolled: 1-line block ×3, first 2 shown]
	v_dual_sub_f32 v154, v184, v157 :: v_dual_sub_f32 v155, v182, v200
	v_dual_sub_f32 v152, v156, v183 :: v_dual_sub_f32 v153, v199, v181
	s_delay_alu instid0(VALU_DEP_2) | instskip(SKIP_2) | instid1(VALU_DEP_3)
	v_add_f32_e32 v226, v154, v155
	s_wait_dscnt 0x4
	v_mul_f32_e32 v154, v210, v149
	v_add_f32_e32 v221, v152, v153
	v_dual_add_f32 v153, v184, v182 :: v_dual_fmac_f32 v166, 0x3f167918, v220
	s_delay_alu instid0(VALU_DEP_3)
	v_fma_f32 v227, v209, v148, -v154
	v_mul_f32_e32 v154, v206, v145
	v_mul_f32_e32 v209, v209, v149
	v_add_f32_e32 v152, v183, v181
	v_fma_f32 v187, -0.5, v153, v202
	v_sub_f32_e32 v153, v200, v182
	v_fma_f32 v228, v205, v144, -v154
	v_fmac_f32_e32 v209, v210, v148
	v_fma_f32 v186, -0.5, v152, v201
	v_sub_f32_e32 v152, v157, v184
	v_dual_sub_f32 v222, v156, v199 :: v_dual_mul_f32 v205, v205, v145
	v_dual_fmac_f32 v166, 0x3e9e377a, v191 :: v_dual_sub_f32 v191, v157, v200
	s_delay_alu instid0(VALU_DEP_3) | instskip(NEXT) | instid1(VALU_DEP_3)
	v_dual_add_f32 v220, v152, v153 :: v_dual_add_f32 v229, v203, v228
	v_fmamk_f32 v153, v222, 0xbf737871, v187
	s_delay_alu instid0(VALU_DEP_3) | instskip(SKIP_1) | instid1(VALU_DEP_3)
	v_dual_sub_f32 v231, v192, v209 :: v_dual_fmamk_f32 v152, v191, 0x3f737871, v186
	v_dual_fmac_f32 v167, 0x3e9e377a, v196 :: v_dual_add_f32 v154, v193, v227
	v_fmac_f32_e32 v153, 0xbf167918, v224
	s_delay_alu instid0(VALU_DEP_3) | instskip(SKIP_2) | instid1(VALU_DEP_4)
	v_dual_add_f32 v155, v228, v198 :: v_dual_fmac_f32 v152, 0x3f167918, v223
	v_fmac_f32_e32 v205, v206, v144
	v_sub_f32_e32 v235, v228, v198
	v_fmac_f32_e32 v153, 0x3e9e377a, v220
	v_fmac_f32_e32 v186, 0xbf737871, v191
	;; [unrolled: 1-line block ×3, first 2 shown]
	v_sub_f32_e32 v233, v205, v197
	v_add_f32_e32 v206, v204, v205
	s_delay_alu instid0(VALU_DEP_4)
	v_fmac_f32_e32 v186, 0xbf167918, v223
	ds_store_2addr_b64 v175, v[166:167], v[152:153] offset0:28 offset1:118
	v_dual_sub_f32 v152, v183, v156 :: v_dual_sub_f32 v153, v181, v199
	v_fma_f32 v166, -0.5, v154, v203
	v_fma_f32 v203, -0.5, v155, v203
	v_dual_sub_f32 v154, v193, v228 :: v_dual_sub_f32 v155, v227, v198
	s_delay_alu instid0(VALU_DEP_4) | instskip(SKIP_1) | instid1(VALU_DEP_4)
	v_add_f32_e32 v225, v152, v153
	v_add_f32_e32 v153, v157, v200
	v_fmamk_f32 v195, v231, 0xbf737871, v203
	v_fmac_f32_e32 v203, 0x3f737871, v231
	v_dual_add_f32 v230, v154, v155 :: v_dual_sub_f32 v155, v209, v197
	s_delay_alu instid0(VALU_DEP_4) | instskip(SKIP_3) | instid1(VALU_DEP_4)
	v_fma_f32 v153, -0.5, v153, v202
	v_dual_add_f32 v152, v156, v199 :: v_dual_fmac_f32 v187, 0x3f737871, v222
	v_add_f32_e32 v202, v202, v157
	v_fmac_f32_e32 v203, 0xbf167918, v233
	v_fmamk_f32 v189, v224, 0x3f737871, v153
	v_fmac_f32_e32 v153, 0xbf737871, v224
	v_fmac_f32_e32 v187, 0x3f167918, v224
	v_fma_f32 v152, -0.5, v152, v201
	s_delay_alu instid0(VALU_DEP_4) | instskip(NEXT) | instid1(VALU_DEP_4)
	v_dual_add_f32 v154, v192, v209 :: v_dual_fmac_f32 v189, 0xbf167918, v222
	v_dual_sub_f32 v232, v193, v227 :: v_dual_fmac_f32 v153, 0x3f167918, v222
	s_delay_alu instid0(VALU_DEP_3) | instskip(SKIP_1) | instid1(VALU_DEP_4)
	v_fmamk_f32 v188, v223, 0xbf737871, v152
	v_fmac_f32_e32 v152, 0x3f737871, v223
	v_fma_f32 v167, -0.5, v154, v204
	v_dual_add_f32 v154, v205, v197 :: v_dual_fmac_f32 v189, 0x3e9e377a, v226
	v_fmac_f32_e32 v153, 0x3e9e377a, v226
	s_delay_alu instid0(VALU_DEP_4) | instskip(NEXT) | instid1(VALU_DEP_3)
	v_dual_fmac_f32 v152, 0xbf167918, v191 :: v_dual_add_f32 v201, v201, v156
	v_fmac_f32_e32 v204, -0.5, v154
	v_dual_sub_f32 v154, v192, v205 :: v_dual_fmac_f32 v203, 0x3e9e377a, v230
	v_fmac_f32_e32 v195, 0x3f167918, v233
	s_delay_alu instid0(VALU_DEP_4) | instskip(NEXT) | instid1(VALU_DEP_4)
	v_fmac_f32_e32 v152, 0x3e9e377a, v225
	v_fmamk_f32 v196, v232, 0x3f737871, v204
	v_fmac_f32_e32 v204, 0xbf737871, v232
	s_delay_alu instid0(VALU_DEP_4) | instskip(SKIP_1) | instid1(VALU_DEP_3)
	v_dual_add_f32 v210, v154, v155 :: v_dual_fmac_f32 v195, 0x3e9e377a, v230
	v_fmac_f32_e32 v187, 0x3e9e377a, v220
	v_fmac_f32_e32 v204, 0x3f167918, v235
	s_delay_alu instid0(VALU_DEP_1) | instskip(SKIP_3) | instid1(VALU_DEP_2)
	v_fmac_f32_e32 v204, 0x3e9e377a, v210
	ds_store_2addr_b64 v185, v[152:153], v[203:204] offset0:122 offset1:212
	v_lshlrev_b64_e32 v[152:153], 5, v[160:161]
	v_add_f32_e32 v161, v202, v184
	v_add_co_u32 v152, s1, s2, v152
	s_wait_alu 0xf1ff
	s_delay_alu instid0(VALU_DEP_3)
	v_add_co_ci_u32_e64 v153, s1, s3, v153, s1
	s_clause 0x1
	global_load_b128 v[156:159], v[152:153], off offset:3520
	global_load_b128 v[152:155], v[152:153], off offset:3536
	v_dual_add_f32 v161, v161, v182 :: v_dual_fmamk_f32 v182, v235, 0xbf737871, v167
	v_fmac_f32_e32 v167, 0x3f737871, v235
	s_add_nc_u64 s[2:3], s[16:17], 0x4650
	s_delay_alu instid0(VALU_DEP_2) | instskip(SKIP_1) | instid1(VALU_DEP_2)
	v_add_f32_e32 v161, v161, v200
	s_wait_loadcnt 0x1
	v_dual_fmac_f32 v167, 0x3f167918, v232 :: v_dual_mul_f32 v160, v208, v157
	v_mul_f32_e32 v204, v207, v157
	s_delay_alu instid0(VALU_DEP_2) | instskip(SKIP_1) | instid1(VALU_DEP_3)
	v_fma_f32 v203, v207, v156, -v160
	v_mul_f32_e32 v160, v169, v159
	v_fmac_f32_e32 v204, v208, v156
	v_mul_f32_e32 v208, v168, v159
	s_delay_alu instid0(VALU_DEP_3) | instskip(SKIP_2) | instid1(VALU_DEP_3)
	v_fma_f32 v207, v168, v158, -v160
	s_wait_loadcnt 0x0
	v_mul_f32_e32 v160, v212, v153
	v_fmac_f32_e32 v208, v169, v158
	v_dual_add_f32 v168, v229, v193 :: v_dual_add_f32 v169, v206, v192
	s_delay_alu instid0(VALU_DEP_3) | instskip(SKIP_1) | instid1(VALU_DEP_3)
	v_fma_f32 v236, v211, v152, -v160
	v_add_f32_e32 v160, v201, v183
	v_dual_add_f32 v168, v168, v227 :: v_dual_add_f32 v169, v169, v209
	v_mul_f32_e32 v211, v211, v153
	s_delay_alu instid0(VALU_DEP_3) | instskip(NEXT) | instid1(VALU_DEP_3)
	v_dual_mul_f32 v183, v170, v155 :: v_dual_add_f32 v160, v160, v181
	v_dual_fmamk_f32 v181, v233, 0x3f737871, v166 :: v_dual_add_f32 v168, v168, v198
	s_delay_alu instid0(VALU_DEP_4) | instskip(NEXT) | instid1(VALU_DEP_4)
	v_add_f32_e32 v169, v169, v197
	v_dual_fmac_f32 v166, 0xbf737871, v233 :: v_dual_fmac_f32 v211, v212, v152
	s_delay_alu instid0(VALU_DEP_3) | instskip(SKIP_1) | instid1(VALU_DEP_3)
	v_fmac_f32_e32 v181, 0x3f167918, v231
	v_dual_add_f32 v160, v160, v199 :: v_dual_fmac_f32 v183, v171, v154
	v_fmac_f32_e32 v166, 0xbf167918, v231
	v_fmac_f32_e32 v186, 0x3e9e377a, v221
	;; [unrolled: 1-line block ×3, first 2 shown]
	ds_store_2addr_b64 v180, v[160:161], v[168:169] offset0:52 offset1:142
	v_dual_sub_f32 v160, v228, v193 :: v_dual_sub_f32 v161, v198, v227
	v_sub_f32_e32 v168, v205, v192
	v_sub_f32_e32 v169, v197, v209
	s_delay_alu instid0(VALU_DEP_3) | instskip(NEXT) | instid1(VALU_DEP_2)
	v_dual_add_f32 v161, v160, v161 :: v_dual_mul_f32 v160, v171, v155
	v_add_f32_e32 v168, v168, v169
	s_delay_alu instid0(VALU_DEP_2) | instskip(SKIP_1) | instid1(VALU_DEP_3)
	v_dual_sub_f32 v171, v204, v183 :: v_dual_fmac_f32 v166, 0x3e9e377a, v161
	v_fmac_f32_e32 v181, 0x3e9e377a, v161
	v_fmac_f32_e32 v167, 0x3e9e377a, v168
	;; [unrolled: 1-line block ×3, first 2 shown]
	v_dual_sub_f32 v161, v203, v207 :: v_dual_fmac_f32 v188, 0x3e9e377a, v225
	ds_store_2addr_b64 v194, v[186:187], v[166:167] offset0:60 offset1:150
	v_fma_f32 v167, v170, v154, -v160
	s_delay_alu instid0(VALU_DEP_1) | instskip(SKIP_1) | instid1(VALU_DEP_1)
	v_dual_fmac_f32 v196, 0x3e9e377a, v210 :: v_dual_sub_f32 v187, v203, v167
	v_sub_f32_e32 v166, v167, v236
	v_dual_add_f32 v170, v161, v166 :: v_dual_add_f32 v161, v208, v211
	ds_store_2addr_b64 v177, v[188:189], v[195:196] offset0:56 offset1:146
	v_dual_add_f32 v189, v204, v183 :: v_dual_fmac_f32 v182, 0xbf167918, v232
	v_sub_f32_e32 v166, v204, v208
	v_fma_f32 v161, -0.5, v161, v165
	v_add_f32_e32 v160, v207, v236
	v_sub_f32_e32 v188, v207, v236
	v_fmac_f32_e32 v182, 0x3e9e377a, v168
	s_delay_alu instid0(VALU_DEP_4) | instskip(SKIP_2) | instid1(VALU_DEP_3)
	v_fmamk_f32 v169, v187, 0xbf737871, v161
	v_fmac_f32_e32 v161, 0x3f737871, v187
	v_fma_f32 v160, -0.5, v160, v164
	v_dual_sub_f32 v168, v183, v211 :: v_dual_fmac_f32 v169, 0xbf167918, v188
	s_delay_alu instid0(VALU_DEP_3) | instskip(NEXT) | instid1(VALU_DEP_2)
	v_fmac_f32_e32 v161, 0x3f167918, v188
	v_add_f32_e32 v184, v166, v168
	v_sub_f32_e32 v186, v208, v211
	v_fmamk_f32 v168, v171, 0x3f737871, v160
	v_add_f32_e32 v166, v203, v167
	v_fmac_f32_e32 v160, 0xbf737871, v171
	v_fmac_f32_e32 v169, 0x3e9e377a, v184
	s_delay_alu instid0(VALU_DEP_4) | instskip(NEXT) | instid1(VALU_DEP_3)
	v_fmac_f32_e32 v168, 0x3f167918, v186
	v_fmac_f32_e32 v160, 0xbf167918, v186
	s_delay_alu instid0(VALU_DEP_2) | instskip(NEXT) | instid1(VALU_DEP_2)
	v_fmac_f32_e32 v168, 0x3e9e377a, v170
	v_fmac_f32_e32 v160, 0x3e9e377a, v170
	ds_store_2addr_b64 v213, v[181:182], v[168:169] offset0:80 offset1:170
	v_add_f32_e32 v181, v164, v203
	v_fma_f32 v164, -0.5, v166, v164
	v_sub_f32_e32 v182, v236, v167
	s_delay_alu instid0(VALU_DEP_3) | instskip(NEXT) | instid1(VALU_DEP_3)
	v_add_f32_e32 v166, v181, v207
	v_fmamk_f32 v170, v186, 0xbf737871, v164
	v_dual_fmac_f32 v164, 0x3f737871, v186 :: v_dual_sub_f32 v181, v207, v203
	v_sub_f32_e32 v186, v208, v204
	s_delay_alu instid0(VALU_DEP_4) | instskip(NEXT) | instid1(VALU_DEP_4)
	v_add_f32_e32 v166, v166, v236
	v_fmac_f32_e32 v170, 0x3f167918, v171
	s_delay_alu instid0(VALU_DEP_4) | instskip(NEXT) | instid1(VALU_DEP_3)
	v_dual_fmac_f32 v164, 0xbf167918, v171 :: v_dual_add_f32 v181, v181, v182
	v_dual_add_f32 v166, v166, v167 :: v_dual_add_f32 v167, v165, v204
	v_fmac_f32_e32 v165, -0.5, v189
	s_delay_alu instid0(VALU_DEP_3) | instskip(NEXT) | instid1(VALU_DEP_3)
	v_fmac_f32_e32 v170, 0x3e9e377a, v181
	v_dual_fmac_f32 v164, 0x3e9e377a, v181 :: v_dual_add_f32 v167, v167, v208
	s_delay_alu instid0(VALU_DEP_3) | instskip(SKIP_1) | instid1(VALU_DEP_3)
	v_fmamk_f32 v171, v188, 0x3f737871, v165
	v_fmac_f32_e32 v165, 0xbf737871, v188
	v_add_f32_e32 v167, v167, v211
	s_delay_alu instid0(VALU_DEP_3) | instskip(NEXT) | instid1(VALU_DEP_3)
	v_fmac_f32_e32 v171, 0xbf167918, v187
	v_fmac_f32_e32 v165, 0x3f167918, v187
	s_delay_alu instid0(VALU_DEP_3) | instskip(SKIP_1) | instid1(VALU_DEP_1)
	v_add_f32_e32 v167, v167, v183
	v_sub_f32_e32 v183, v211, v183
	v_add_f32_e32 v182, v186, v183
	s_delay_alu instid0(VALU_DEP_1)
	v_fmac_f32_e32 v171, 0x3e9e377a, v182
	v_fmac_f32_e32 v165, 0x3e9e377a, v182
	v_fmac_f32_e32 v161, 0x3e9e377a, v184
	ds_store_b64 v255, v[166:167] offset:2880
	ds_store_b64 v255, v[170:171] offset:10080
	;; [unrolled: 1-line block ×4, first 2 shown]
	global_wb scope:SCOPE_SE
	s_wait_dscnt 0x0
	s_barrier_signal -1
	s_barrier_wait -1
	global_inv scope:SCOPE_SE
	s_clause 0x3
	global_load_b64 v[186:187], v[214:215], off offset:18000
	global_load_b64 v[188:189], v255, s[2:3] offset:720
	global_load_b64 v[191:192], v255, s[2:3] offset:1800
	global_load_b64 v[195:196], v255, s[2:3] offset:2520
	ds_load_2addr_b64 v[181:184], v255 offset1:90
	s_wait_loadcnt_dscnt 0x300
	v_mul_f32_e32 v193, v182, v187
	s_wait_loadcnt 0x2
	v_dual_mul_f32 v198, v181, v187 :: v_dual_mul_f32 v187, v183, v189
	s_delay_alu instid0(VALU_DEP_2) | instskip(NEXT) | instid1(VALU_DEP_2)
	v_fma_f32 v197, v181, v186, -v193
	v_dual_fmac_f32 v198, v182, v186 :: v_dual_mul_f32 v181, v184, v189
	s_delay_alu instid0(VALU_DEP_3)
	v_fmac_f32_e32 v187, v184, v188
	ds_store_b64 v255, v[197:198]
	v_fma_f32 v186, v183, v188, -v181
	ds_load_2addr_b64 v[181:184], v180 offset0:97 offset1:187
	s_wait_loadcnt_dscnt 0x100
	v_mul_f32_e32 v188, v182, v192
	v_mul_f32_e32 v189, v181, v192
	s_wait_loadcnt 0x0
	v_mul_f32_e32 v192, v183, v196
	s_delay_alu instid0(VALU_DEP_3) | instskip(SKIP_2) | instid1(VALU_DEP_4)
	v_fma_f32 v188, v181, v191, -v188
	v_mul_f32_e32 v181, v184, v196
	v_fmac_f32_e32 v189, v182, v191
	v_fmac_f32_e32 v192, v184, v195
	s_delay_alu instid0(VALU_DEP_3)
	v_fma_f32 v191, v183, v195, -v181
	s_clause 0x3
	global_load_b64 v[195:196], v255, s[2:3] offset:3600
	global_load_b64 v[197:198], v255, s[2:3] offset:4320
	;; [unrolled: 1-line block ×4, first 2 shown]
	ds_load_2addr_b64 v[181:184], v172 offset0:66 offset1:156
	s_wait_loadcnt_dscnt 0x300
	v_mul_f32_e32 v172, v182, v196
	v_mul_f32_e32 v204, v181, v196
	s_wait_loadcnt 0x2
	v_mul_f32_e32 v196, v183, v198
	s_delay_alu instid0(VALU_DEP_3) | instskip(SKIP_2) | instid1(VALU_DEP_4)
	v_fma_f32 v203, v181, v195, -v172
	v_mul_f32_e32 v172, v184, v198
	v_fmac_f32_e32 v204, v182, v195
	v_fmac_f32_e32 v196, v184, v197
	s_delay_alu instid0(VALU_DEP_3)
	v_fma_f32 v195, v183, v197, -v172
	ds_load_2addr_b64 v[181:184], v175 offset0:163 offset1:253
	s_wait_loadcnt_dscnt 0x100
	v_mul_f32_e32 v172, v182, v200
	v_mul_f32_e32 v198, v181, v200
	s_wait_loadcnt 0x0
	v_mul_f32_e32 v200, v183, v202
	s_delay_alu instid0(VALU_DEP_3) | instskip(SKIP_2) | instid1(VALU_DEP_4)
	v_fma_f32 v197, v181, v199, -v172
	v_mul_f32_e32 v172, v184, v202
	v_fmac_f32_e32 v198, v182, v199
	v_fmac_f32_e32 v200, v184, v201
	s_delay_alu instid0(VALU_DEP_3)
	v_fma_f32 v199, v183, v201, -v172
	s_clause 0x3
	global_load_b64 v[201:202], v255, s[2:3] offset:7200
	global_load_b64 v[205:206], v255, s[2:3] offset:7920
	;; [unrolled: 1-line block ×4, first 2 shown]
	ds_load_2addr_b64 v[181:184], v174 offset0:132 offset1:222
	s_wait_loadcnt_dscnt 0x300
	v_mul_f32_e32 v172, v182, v202
	v_mul_f32_e32 v212, v181, v202
	s_wait_loadcnt 0x2
	v_mul_f32_e32 v202, v183, v206
	s_delay_alu instid0(VALU_DEP_3) | instskip(SKIP_2) | instid1(VALU_DEP_4)
	v_fma_f32 v211, v181, v201, -v172
	v_mul_f32_e32 v172, v184, v206
	v_fmac_f32_e32 v212, v182, v201
	v_fmac_f32_e32 v202, v184, v205
	s_delay_alu instid0(VALU_DEP_3)
	v_fma_f32 v201, v183, v205, -v172
	ds_load_2addr_b64 v[181:184], v177 offset0:101 offset1:191
	s_wait_loadcnt_dscnt 0x100
	v_mul_f32_e32 v172, v182, v208
	v_mul_f32_e32 v206, v181, v208
	s_wait_loadcnt 0x0
	v_mul_f32_e32 v208, v183, v210
	s_delay_alu instid0(VALU_DEP_3) | instskip(SKIP_2) | instid1(VALU_DEP_4)
	v_fma_f32 v205, v181, v207, -v172
	v_mul_f32_e32 v172, v184, v210
	v_fmac_f32_e32 v206, v182, v207
	v_fmac_f32_e32 v208, v184, v209
	s_delay_alu instid0(VALU_DEP_3)
	v_fma_f32 v207, v183, v209, -v172
	s_clause 0x3
	global_load_b64 v[209:210], v255, s[2:3] offset:10800
	global_load_b64 v[220:221], v255, s[2:3] offset:11520
	global_load_b64 v[222:223], v255, s[2:3] offset:12600
	global_load_b64 v[224:225], v255, s[2:3] offset:13320
	ds_load_2addr_b64 v[181:184], v176 offset0:70 offset1:160
	s_wait_loadcnt_dscnt 0x300
	v_mul_f32_e32 v172, v182, v210
	s_wait_loadcnt 0x2
	v_dual_mul_f32 v227, v181, v210 :: v_dual_mul_f32 v210, v183, v221
	s_delay_alu instid0(VALU_DEP_2) | instskip(SKIP_1) | instid1(VALU_DEP_3)
	v_fma_f32 v226, v181, v209, -v172
	v_mul_f32_e32 v172, v184, v221
	v_dual_fmac_f32 v227, v182, v209 :: v_dual_fmac_f32 v210, v184, v220
	s_delay_alu instid0(VALU_DEP_2)
	v_fma_f32 v209, v183, v220, -v172
	ds_load_2addr_b64 v[181:184], v190 offset0:39 offset1:129
	s_wait_loadcnt_dscnt 0x100
	v_mul_f32_e32 v172, v182, v223
	v_mul_f32_e32 v221, v181, v223
	s_wait_loadcnt 0x0
	v_mul_f32_e32 v223, v183, v225
	s_delay_alu instid0(VALU_DEP_3) | instskip(NEXT) | instid1(VALU_DEP_3)
	v_fma_f32 v220, v181, v222, -v172
	v_dual_mul_f32 v172, v184, v225 :: v_dual_fmac_f32 v221, v182, v222
	s_delay_alu instid0(VALU_DEP_3) | instskip(NEXT) | instid1(VALU_DEP_2)
	v_fmac_f32_e32 v223, v184, v224
	v_fma_f32 v222, v183, v224, -v172
	s_clause 0x3
	global_load_b64 v[224:225], v255, s[2:3] offset:14400
	global_load_b64 v[228:229], v255, s[2:3] offset:15120
	;; [unrolled: 1-line block ×4, first 2 shown]
	ds_load_2addr_b64 v[181:184], v173 offset0:8 offset1:98
	ds_store_2addr_b64 v179, v[191:192], v[203:204] offset0:59 offset1:194
	s_wait_loadcnt_dscnt 0x301
	v_mul_f32_e32 v172, v182, v225
	v_mul_f32_e32 v236, v181, v225
	s_wait_loadcnt 0x2
	v_mul_f32_e32 v225, v183, v229
	s_delay_alu instid0(VALU_DEP_3) | instskip(SKIP_2) | instid1(VALU_DEP_4)
	v_fma_f32 v235, v181, v224, -v172
	v_mul_f32_e32 v172, v184, v229
	v_fmac_f32_e32 v236, v182, v224
	v_fmac_f32_e32 v225, v184, v228
	s_delay_alu instid0(VALU_DEP_3) | instskip(SKIP_4) | instid1(VALU_DEP_2)
	v_fma_f32 v224, v183, v228, -v172
	ds_load_2addr_b64 v[181:184], v194 offset0:105 offset1:195
	s_wait_loadcnt_dscnt 0x100
	v_mul_f32_e32 v172, v182, v231
	v_mul_f32_e32 v229, v181, v231
	v_fma_f32 v228, v181, v230, -v172
	s_wait_loadcnt 0x0
	s_delay_alu instid0(VALU_DEP_2) | instskip(SKIP_1) | instid1(VALU_DEP_2)
	v_dual_mul_f32 v172, v184, v233 :: v_dual_fmac_f32 v229, v182, v230
	v_mul_f32_e32 v182, v183, v233
	v_fma_f32 v181, v183, v232, -v172
	v_add_nc_u32_e32 v172, 0x1600, v255
	s_delay_alu instid0(VALU_DEP_3)
	v_fmac_f32_e32 v182, v184, v232
	ds_store_2addr_b64 v172, v[199:200], v[211:212] offset0:61 offset1:196
	v_add_nc_u32_e32 v172, 0x1c00, v255
	ds_store_2addr_b64 v172, v[201:202], v[205:206] offset0:94 offset1:229
	ds_store_2addr_b64 v178, v[207:208], v[226:227] offset0:63 offset1:198
	ds_store_2addr_b64 v185, v[209:210], v[220:221] offset0:32 offset1:167
	v_add_nc_u32_e32 v172, 0x3400, v255
	ds_store_2addr_b64 v172, v[222:223], v[235:236] offset0:1 offset1:136
	ds_store_2addr_b64 v255, v[186:187], v[188:189] offset0:90 offset1:225
	;; [unrolled: 1-line block ×4, first 2 shown]
	ds_store_b64 v255, v[181:182] offset:16920
	s_and_saveexec_b32 s1, vcc_lo
	s_cbranch_execz .LBB0_17
; %bb.16:
	s_wait_alu 0xfffe
	v_add_co_u32 v178, s2, s2, v255
	s_wait_alu 0xf1ff
	v_add_co_ci_u32_e64 v179, null, s3, 0, s2
	s_clause 0x9
	global_load_b64 v[185:186], v[178:179], off offset:1440
	global_load_b64 v[187:188], v[178:179], off offset:3240
	;; [unrolled: 1-line block ×10, first 2 shown]
	v_add_nc_u32_e32 v172, 0x500, v255
	v_add_nc_u32_e32 v209, 0x2f00, v255
	ds_load_2addr_b64 v[181:184], v172 offset0:20 offset1:245
	s_wait_loadcnt_dscnt 0x900
	v_mul_f32_e32 v193, v182, v186
	s_wait_loadcnt 0x8
	v_dual_mul_f32 v189, v181, v186 :: v_dual_mul_f32 v186, v183, v188
	v_mul_f32_e32 v197, v184, v188
	s_delay_alu instid0(VALU_DEP_3) | instskip(NEXT) | instid1(VALU_DEP_3)
	v_fma_f32 v188, v181, v185, -v193
	v_dual_fmac_f32 v189, v182, v185 :: v_dual_fmac_f32 v186, v184, v187
	s_delay_alu instid0(VALU_DEP_3)
	v_fma_f32 v185, v183, v187, -v197
	v_add_nc_u32_e32 v193, 0x1300, v255
	ds_store_2addr_b64 v172, v[188:189], v[185:186] offset0:20 offset1:245
	ds_load_2addr_b64 v[181:184], v193 offset0:22 offset1:247
	s_wait_loadcnt_dscnt 0x700
	v_mul_f32_e32 v172, v182, v192
	v_mul_f32_e32 v186, v181, v192
	s_wait_loadcnt 0x6
	v_mul_f32_e32 v187, v184, v196
	v_mul_f32_e32 v188, v183, v196
	v_fma_f32 v185, v181, v191, -v172
	v_fmac_f32_e32 v186, v182, v191
	v_add_nc_u32_e32 v172, 0x2100, v255
	v_fma_f32 v187, v183, v195, -v187
	v_fmac_f32_e32 v188, v184, v195
	ds_store_2addr_b64 v193, v[185:186], v[187:188] offset0:22 offset1:247
	v_add_nc_u32_e32 v193, 0x3d00, v255
	ds_load_2addr_b64 v[181:184], v172 offset0:24 offset1:249
	ds_load_2addr_b64 v[185:188], v209 offset0:26 offset1:251
	;; [unrolled: 1-line block ×3, first 2 shown]
	s_wait_loadcnt_dscnt 0x402
	v_dual_mul_f32 v191, v182, v200 :: v_dual_mul_f32 v210, v184, v202
	s_wait_loadcnt_dscnt 0x201
	v_dual_mul_f32 v211, v186, v204 :: v_dual_mul_f32 v212, v188, v206
	s_wait_loadcnt_dscnt 0x100
	v_mul_f32_e32 v189, v195, v208
	v_mul_f32_e32 v192, v181, v200
	v_mul_f32_e32 v200, v183, v202
	v_mul_f32_e32 v202, v185, v204
	s_delay_alu instid0(VALU_DEP_4)
	v_dual_mul_f32 v204, v187, v206 :: v_dual_fmac_f32 v189, v196, v207
	v_mul_f32_e32 v206, v196, v208
	s_wait_loadcnt 0x0
	v_mul_f32_e32 v208, v198, v179
	v_fmac_f32_e32 v192, v182, v199
	v_mul_f32_e32 v182, v197, v179
	v_fma_f32 v191, v181, v199, -v191
	v_fma_f32 v199, v183, v201, -v210
	v_fmac_f32_e32 v200, v184, v201
	v_fma_f32 v201, v185, v203, -v211
	v_fmac_f32_e32 v202, v186, v203
	;; [unrolled: 2-line block ×3, first 2 shown]
	v_fma_f32 v188, v195, v207, -v206
	v_fma_f32 v181, v197, v178, -v208
	v_fmac_f32_e32 v182, v198, v178
	ds_store_2addr_b64 v172, v[191:192], v[199:200] offset0:24 offset1:249
	ds_store_2addr_b64 v209, v[201:202], v[203:204] offset0:26 offset1:251
	;; [unrolled: 1-line block ×3, first 2 shown]
.LBB0_17:
	s_wait_alu 0xfffe
	s_or_b32 exec_lo, exec_lo, s1
	v_add_nc_u32_e32 v172, 0xc00, v255
	global_wb scope:SCOPE_SE
	s_wait_dscnt 0x0
	s_barrier_signal -1
	s_barrier_wait -1
	global_inv scope:SCOPE_SE
	ds_load_2addr_b64 v[178:181], v180 offset0:97 offset1:187
	ds_load_2addr_b64 v[198:201], v172 offset0:66 offset1:156
	;; [unrolled: 1-line block ×9, first 2 shown]
	ds_load_2addr_b64 v[174:177], v255 offset1:90
	s_and_saveexec_b32 s1, vcc_lo
	s_cbranch_execz .LBB0_19
; %bb.18:
	v_add_nc_u32_e32 v4, 0x1300, v255
	v_add_nc_u32_e32 v6, 0x2100, v255
	;; [unrolled: 1-line block ×4, first 2 shown]
	ds_load_2addr_b64 v[170:173], v4 offset0:22 offset1:247
	s_wait_dscnt 0x0
	v_dual_mov_b32 v164, v172 :: v_dual_add_nc_u32 v5, 0x500, v255
	ds_load_2addr_b64 v[166:169], v5 offset0:20 offset1:245
	ds_load_2addr_b64 v[160:163], v6 offset0:24 offset1:249
	;; [unrolled: 1-line block ×4, first 2 shown]
	v_mov_b32_e32 v165, v173
.LBB0_19:
	s_wait_alu 0xfffe
	s_or_b32 exec_lo, exec_lo, s1
	s_wait_dscnt 0x6
	v_sub_f32_e32 v172, v198, v202
	s_wait_dscnt 0x2
	v_dual_sub_f32 v173, v210, v206 :: v_dual_sub_f32 v220, v211, v207
	s_wait_dscnt 0x1
	v_dual_sub_f32 v221, v194, v190 :: v_dual_sub_f32 v222, v195, v191
	v_dual_sub_f32 v226, v182, v194 :: v_dual_sub_f32 v227, v183, v195
	s_delay_alu instid0(VALU_DEP_3)
	v_dual_add_f32 v172, v172, v173 :: v_dual_sub_f32 v173, v199, v203
	v_sub_f32_e32 v240, v203, v207
	v_sub_f32_e32 v233, v191, v195
	global_wb scope:SCOPE_SE
	s_wait_dscnt 0x0
	s_barrier_signal -1
	v_dual_add_f32 v173, v173, v220 :: v_dual_sub_f32 v220, v182, v186
	s_barrier_wait -1
	global_inv scope:SCOPE_SE
	v_sub_f32_e32 v225, v187, v191
	v_dual_sub_f32 v231, v206, v210 :: v_dual_add_f32 v220, v220, v221
	v_sub_f32_e32 v221, v183, v187
	v_sub_f32_e32 v242, v199, v211
	;; [unrolled: 1-line block ×4, first 2 shown]
	s_delay_alu instid0(VALU_DEP_4) | instskip(SKIP_1) | instid1(VALU_DEP_1)
	v_add_f32_e32 v223, v221, v222
	v_dual_add_f32 v221, v186, v190 :: v_dual_add_f32 v222, v187, v191
	v_fma_f32 v221, -0.5, v221, v178
	s_delay_alu instid0(VALU_DEP_2) | instskip(NEXT) | instid1(VALU_DEP_2)
	v_fma_f32 v222, -0.5, v222, v179
	v_dual_sub_f32 v224, v186, v190 :: v_dual_fmamk_f32 v229, v227, 0xbf737871, v221
	s_delay_alu instid0(VALU_DEP_2) | instskip(SKIP_1) | instid1(VALU_DEP_1)
	v_fmamk_f32 v230, v226, 0x3f737871, v222
	v_fmac_f32_e32 v222, 0xbf737871, v226
	v_dual_fmac_f32 v229, 0xbf167918, v225 :: v_dual_fmac_f32 v222, 0xbf167918, v224
	s_delay_alu instid0(VALU_DEP_1) | instskip(NEXT) | instid1(VALU_DEP_4)
	v_fmac_f32_e32 v229, 0x3e9e377a, v220
	v_fmac_f32_e32 v230, 0x3f167918, v224
	s_delay_alu instid0(VALU_DEP_3) | instskip(NEXT) | instid1(VALU_DEP_2)
	v_fmac_f32_e32 v222, 0x3e9e377a, v223
	v_fmac_f32_e32 v230, 0x3e9e377a, v223
	s_delay_alu instid0(VALU_DEP_1) | instskip(NEXT) | instid1(VALU_DEP_1)
	v_mul_f32_e32 v228, 0xbf167918, v230
	v_fmac_f32_e32 v228, 0x3f4f1bbd, v229
	v_mul_f32_e32 v229, 0x3f167918, v229
	s_delay_alu instid0(VALU_DEP_1) | instskip(SKIP_1) | instid1(VALU_DEP_1)
	v_fmac_f32_e32 v229, 0x3f4f1bbd, v230
	v_sub_f32_e32 v230, v202, v198
	v_add_f32_e32 v230, v230, v231
	v_add_f32_e32 v231, v198, v210
	;; [unrolled: 1-line block ×3, first 2 shown]
	s_delay_alu instid0(VALU_DEP_2) | instskip(NEXT) | instid1(VALU_DEP_2)
	v_fma_f32 v239, -0.5, v231, v174
	v_dual_sub_f32 v231, v207, v211 :: v_dual_add_f32 v198, v198, v202
	s_delay_alu instid0(VALU_DEP_2) | instskip(NEXT) | instid1(VALU_DEP_1)
	v_dual_add_f32 v202, v202, v206 :: v_dual_fmamk_f32 v241, v240, 0x3f737871, v239
	v_fma_f32 v202, -0.5, v202, v174
	s_delay_alu instid0(VALU_DEP_3) | instskip(NEXT) | instid1(VALU_DEP_3)
	v_add_f32_e32 v174, v198, v206
	v_fmac_f32_e32 v241, 0xbf167918, v242
	v_fmac_f32_e32 v239, 0xbf737871, v240
	v_sub_f32_e32 v206, v188, v184
	v_fmamk_f32 v198, v242, 0xbf737871, v202
	v_fmac_f32_e32 v202, 0x3f737871, v242
	v_fmac_f32_e32 v241, 0x3e9e377a, v230
	;; [unrolled: 1-line block ×3, first 2 shown]
	s_delay_alu instid0(VALU_DEP_4) | instskip(NEXT) | instid1(VALU_DEP_4)
	v_fmac_f32_e32 v198, 0xbf167918, v240
	v_fmac_f32_e32 v202, 0x3f167918, v240
	s_delay_alu instid0(VALU_DEP_3) | instskip(NEXT) | instid1(VALU_DEP_3)
	v_dual_fmac_f32 v239, 0x3e9e377a, v230 :: v_dual_sub_f32 v230, v203, v199
	v_fmac_f32_e32 v198, 0x3e9e377a, v172
	s_delay_alu instid0(VALU_DEP_3) | instskip(SKIP_1) | instid1(VALU_DEP_4)
	v_fmac_f32_e32 v202, 0x3e9e377a, v172
	v_fmac_f32_e32 v221, 0x3f737871, v227
	v_add_f32_e32 v230, v230, v231
	v_add_f32_e32 v231, v199, v211
	;; [unrolled: 1-line block ×3, first 2 shown]
	s_delay_alu instid0(VALU_DEP_4) | instskip(NEXT) | instid1(VALU_DEP_3)
	v_fmac_f32_e32 v221, 0x3f167918, v225
	v_fma_f32 v243, -0.5, v231, v175
	v_sub_f32_e32 v231, v190, v194
	s_delay_alu instid0(VALU_DEP_4) | instskip(NEXT) | instid1(VALU_DEP_4)
	v_add_f32_e32 v199, v199, v203
	v_fmac_f32_e32 v221, 0x3e9e377a, v220
	s_delay_alu instid0(VALU_DEP_4) | instskip(SKIP_1) | instid1(VALU_DEP_2)
	v_fmamk_f32 v245, v244, 0xbf737871, v243
	v_fmac_f32_e32 v243, 0x3f737871, v244
	v_fmac_f32_e32 v245, 0x3f167918, v246
	s_delay_alu instid0(VALU_DEP_2) | instskip(NEXT) | instid1(VALU_DEP_2)
	v_fmac_f32_e32 v243, 0xbf167918, v246
	v_fmac_f32_e32 v245, 0x3e9e377a, v230
	s_delay_alu instid0(VALU_DEP_2) | instskip(SKIP_1) | instid1(VALU_DEP_1)
	v_fmac_f32_e32 v243, 0x3e9e377a, v230
	v_sub_f32_e32 v230, v186, v182
	v_add_f32_e32 v230, v230, v231
	v_add_f32_e32 v231, v182, v194
	s_delay_alu instid0(VALU_DEP_1) | instskip(SKIP_2) | instid1(VALU_DEP_3)
	v_fma_f32 v231, -0.5, v231, v178
	v_add_f32_e32 v178, v178, v182
	v_add_f32_e32 v182, v203, v207
	v_fmamk_f32 v232, v225, 0x3f737871, v231
	s_delay_alu instid0(VALU_DEP_3) | instskip(NEXT) | instid1(VALU_DEP_3)
	v_dual_fmac_f32 v231, 0xbf737871, v225 :: v_dual_add_f32 v178, v178, v186
	v_fma_f32 v182, -0.5, v182, v175
	v_add_f32_e32 v175, v199, v207
	s_delay_alu instid0(VALU_DEP_4) | instskip(NEXT) | instid1(VALU_DEP_4)
	v_fmac_f32_e32 v232, 0xbf167918, v227
	v_dual_fmac_f32 v231, 0x3f167918, v227 :: v_dual_add_f32 v178, v178, v190
	v_sub_f32_e32 v199, v208, v212
	s_delay_alu instid0(VALU_DEP_3) | instskip(NEXT) | instid1(VALU_DEP_3)
	v_dual_add_f32 v175, v175, v211 :: v_dual_fmac_f32 v232, 0x3e9e377a, v230
	v_dual_fmac_f32 v231, 0x3e9e377a, v230 :: v_dual_sub_f32 v230, v187, v183
	s_delay_alu instid0(VALU_DEP_4)
	v_add_f32_e32 v178, v178, v194
	v_sub_f32_e32 v190, v200, v212
	v_sub_f32_e32 v186, v205, v201
	v_add_f32_e32 v194, v205, v209
	v_dual_add_f32 v230, v230, v233 :: v_dual_add_f32 v233, v183, v195
	v_add_f32_e32 v207, v185, v197
	v_sub_f32_e32 v211, v189, v193
	s_delay_alu instid0(VALU_DEP_4) | instskip(NEXT) | instid1(VALU_DEP_4)
	v_fma_f32 v194, -0.5, v194, v177
	v_fma_f32 v233, -0.5, v233, v179
	v_add_f32_e32 v179, v179, v183
	s_delay_alu instid0(VALU_DEP_1) | instskip(NEXT) | instid1(VALU_DEP_3)
	v_add_f32_e32 v179, v179, v187
	v_dual_fmamk_f32 v235, v224, 0xbf737871, v233 :: v_dual_add_f32 v174, v174, v210
	s_delay_alu instid0(VALU_DEP_2) | instskip(NEXT) | instid1(VALU_DEP_2)
	v_dual_add_f32 v210, v188, v192 :: v_dual_add_f32 v179, v179, v191
	v_fmac_f32_e32 v235, 0x3f167918, v226
	v_sub_f32_e32 v191, v205, v209
	s_delay_alu instid0(VALU_DEP_3) | instskip(NEXT) | instid1(VALU_DEP_3)
	v_add_f32_e32 v179, v179, v195
	v_fmac_f32_e32 v235, 0x3e9e377a, v230
	v_sub_f32_e32 v195, v204, v208
	s_delay_alu instid0(VALU_DEP_2) | instskip(NEXT) | instid1(VALU_DEP_1)
	v_mul_f32_e32 v247, 0xbf737871, v235
	v_dual_mul_f32 v248, 0x3e9e377a, v235 :: v_dual_fmac_f32 v247, 0x3e9e377a, v232
	s_delay_alu instid0(VALU_DEP_1) | instskip(SKIP_2) | instid1(VALU_DEP_4)
	v_fmac_f32_e32 v248, 0x3f737871, v232
	v_add_f32_e32 v232, v198, v228
	v_fmac_f32_e32 v233, 0x3f737871, v224
	v_dual_sub_f32 v228, v198, v228 :: v_dual_add_f32 v235, v241, v247
	s_delay_alu instid0(VALU_DEP_4) | instskip(NEXT) | instid1(VALU_DEP_3)
	v_add_f32_e32 v236, v245, v248
	v_dual_sub_f32 v198, v212, v208 :: v_dual_fmac_f32 v233, 0xbf167918, v226
	s_delay_alu instid0(VALU_DEP_1) | instskip(SKIP_3) | instid1(VALU_DEP_4)
	v_fmac_f32_e32 v233, 0x3e9e377a, v230
	v_add_f32_e32 v230, v174, v178
	v_sub_f32_e32 v174, v174, v178
	v_mul_f32_e32 v178, 0xbf167918, v222
	v_mul_f32_e32 v250, 0xbe9e377a, v233
	;; [unrolled: 1-line block ×3, first 2 shown]
	s_delay_alu instid0(VALU_DEP_3) | instskip(NEXT) | instid1(VALU_DEP_3)
	v_fmac_f32_e32 v178, 0xbf4f1bbd, v221
	v_fmac_f32_e32 v250, 0x3f737871, v231
	s_delay_alu instid0(VALU_DEP_3) | instskip(NEXT) | instid1(VALU_DEP_3)
	v_fmac_f32_e32 v249, 0xbe9e377a, v231
	v_dual_add_f32 v231, v175, v179 :: v_dual_add_f32 v172, v202, v178
	s_delay_alu instid0(VALU_DEP_3) | instskip(NEXT) | instid1(VALU_DEP_3)
	v_dual_add_f32 v238, v243, v250 :: v_dual_fmamk_f32 v183, v246, 0x3f737871, v182
	v_dual_add_f32 v237, v239, v249 :: v_dual_fmac_f32 v182, 0xbf737871, v246
	s_delay_alu instid0(VALU_DEP_2) | instskip(NEXT) | instid1(VALU_DEP_2)
	v_fmac_f32_e32 v183, 0x3f167918, v244
	v_dual_fmac_f32 v182, 0xbf167918, v244 :: v_dual_sub_f32 v175, v175, v179
	v_mul_f32_e32 v179, 0xbf4f1bbd, v222
	s_delay_alu instid0(VALU_DEP_3) | instskip(NEXT) | instid1(VALU_DEP_3)
	v_fmac_f32_e32 v183, 0x3e9e377a, v173
	v_fmac_f32_e32 v182, 0x3e9e377a, v173
	s_delay_alu instid0(VALU_DEP_3) | instskip(NEXT) | instid1(VALU_DEP_3)
	v_fmac_f32_e32 v179, 0x3f167918, v221
	v_add_f32_e32 v233, v183, v229
	v_sub_f32_e32 v229, v183, v229
	ds_store_b128 v219, v[230:233]
	ds_store_b128 v219, v[235:238] offset:16
	v_sub_f32_e32 v231, v245, v248
	v_add_f32_e32 v173, v182, v179
	v_sub_f32_e32 v230, v241, v247
	ds_store_b128 v219, v[172:175] offset:32
	ds_store_b128 v219, v[228:231] offset:48
	v_sub_f32_e32 v172, v239, v249
	v_sub_f32_e32 v174, v202, v178
	v_dual_add_f32 v178, v177, v201 :: v_dual_sub_f32 v173, v243, v250
	v_dual_sub_f32 v175, v182, v179 :: v_dual_sub_f32 v182, v201, v213
	s_delay_alu instid0(VALU_DEP_2)
	v_dual_add_f32 v178, v178, v205 :: v_dual_add_f32 v187, v204, v208
	ds_store_b128 v219, v[172:175] offset:64
	v_add_f32_e32 v172, v176, v200
	v_sub_f32_e32 v173, v200, v204
	v_add_f32_e32 v179, v201, v213
	v_dual_add_f32 v178, v178, v209 :: v_dual_sub_f32 v175, v204, v200
	s_delay_alu instid0(VALU_DEP_4) | instskip(SKIP_1) | instid1(VALU_DEP_3)
	v_dual_add_f32 v172, v172, v204 :: v_dual_sub_f32 v183, v201, v205
	v_sub_f32_e32 v205, v184, v188
	v_dual_add_f32 v203, v178, v213 :: v_dual_add_f32 v174, v200, v212
	s_delay_alu instid0(VALU_DEP_3) | instskip(SKIP_3) | instid1(VALU_DEP_4)
	v_dual_add_f32 v172, v172, v208 :: v_dual_sub_f32 v201, v209, v213
	v_add_f32_e32 v208, v181, v185
	v_sub_f32_e32 v200, v213, v209
	v_add_f32_e32 v178, v184, v196
	v_add_f32_e32 v202, v172, v212
	;; [unrolled: 1-line block ×3, first 2 shown]
	v_sub_f32_e32 v204, v185, v197
	v_dual_sub_f32 v184, v184, v196 :: v_dual_sub_f32 v209, v185, v189
	s_delay_alu instid0(VALU_DEP_3) | instskip(SKIP_2) | instid1(VALU_DEP_3)
	v_dual_sub_f32 v185, v189, v185 :: v_dual_add_f32 v172, v172, v188
	v_add_f32_e32 v208, v208, v189
	v_dual_add_f32 v189, v189, v193 :: v_dual_sub_f32 v188, v188, v192
	v_dual_sub_f32 v213, v197, v193 :: v_dual_add_f32 v172, v172, v192
	v_sub_f32_e32 v212, v196, v192
	s_delay_alu instid0(VALU_DEP_3) | instskip(SKIP_2) | instid1(VALU_DEP_3)
	v_fma_f32 v189, -0.5, v189, v181
	v_dual_fmac_f32 v181, -0.5, v207 :: v_dual_add_f32 v208, v208, v193
	v_sub_f32_e32 v193, v193, v197
	v_dual_add_f32 v198, v173, v198 :: v_dual_fmamk_f32 v173, v184, 0x3f737871, v189
	v_dual_sub_f32 v192, v192, v196 :: v_dual_add_f32 v209, v209, v213
	v_fma_f32 v178, -0.5, v178, v180
	v_add_f32_e32 v200, v183, v200
	s_delay_alu instid0(VALU_DEP_4)
	v_fmac_f32_e32 v173, 0x3f167918, v188
	v_add_f32_e32 v196, v172, v196
	v_dual_add_f32 v172, v185, v193 :: v_dual_fmamk_f32 v185, v188, 0xbf737871, v181
	v_fmac_f32_e32 v181, 0x3f737871, v188
	v_fma_f32 v193, -0.5, v210, v180
	v_fmac_f32_e32 v173, 0x3e9e377a, v209
	v_add_f32_e32 v197, v208, v197
	v_fmac_f32_e32 v177, -0.5, v179
	v_fmac_f32_e32 v185, 0x3f167918, v184
	v_fmamk_f32 v180, v204, 0xbf737871, v193
	v_fmac_f32_e32 v181, 0xbf167918, v184
	v_mul_f32_e32 v183, 0xbf167918, v173
	v_fmac_f32_e32 v193, 0x3f737871, v204
	v_fmac_f32_e32 v185, 0x3e9e377a, v172
	;; [unrolled: 1-line block ×4, first 2 shown]
	s_delay_alu instid0(VALU_DEP_1) | instskip(SKIP_1) | instid1(VALU_DEP_1)
	v_mul_f32_e32 v207, 0xbf737871, v181
	v_add_f32_e32 v205, v205, v212
	v_fmac_f32_e32 v180, 0x3e9e377a, v205
	v_mul_f32_e32 v208, 0xbe9e377a, v181
	s_delay_alu instid0(VALU_DEP_2) | instskip(NEXT) | instid1(VALU_DEP_1)
	v_mul_f32_e32 v210, 0x3f167918, v180
	v_dual_fmac_f32 v210, 0x3f4f1bbd, v173 :: v_dual_add_f32 v173, v175, v199
	v_fma_f32 v199, -0.5, v174, v176
	v_fmamk_f32 v172, v211, 0x3f737871, v178
	v_fmac_f32_e32 v178, 0xbf737871, v211
	v_fma_f32 v176, -0.5, v187, v176
	s_delay_alu instid0(VALU_DEP_4) | instskip(SKIP_1) | instid1(VALU_DEP_4)
	v_fmamk_f32 v212, v191, 0x3f737871, v199
	v_fmac_f32_e32 v199, 0xbf737871, v191
	v_fmac_f32_e32 v178, 0x3f167918, v204
	v_fmac_f32_e32 v172, 0xbf167918, v204
	s_delay_alu instid0(VALU_DEP_4) | instskip(NEXT) | instid1(VALU_DEP_4)
	v_fmac_f32_e32 v212, 0xbf167918, v182
	v_fmac_f32_e32 v199, 0x3f167918, v182
	s_delay_alu instid0(VALU_DEP_2) | instskip(NEXT) | instid1(VALU_DEP_2)
	v_fmac_f32_e32 v212, 0x3e9e377a, v173
	v_fmac_f32_e32 v199, 0x3e9e377a, v173
	v_add_f32_e32 v173, v186, v201
	v_fmamk_f32 v201, v195, 0xbf737871, v177
	v_fmac_f32_e32 v177, 0x3f737871, v195
	v_mul_f32_e32 v186, 0xbf737871, v185
	s_delay_alu instid0(VALU_DEP_3) | instskip(NEXT) | instid1(VALU_DEP_3)
	v_fmac_f32_e32 v201, 0x3f167918, v190
	v_fmac_f32_e32 v177, 0xbf167918, v190
	s_delay_alu instid0(VALU_DEP_2) | instskip(NEXT) | instid1(VALU_DEP_2)
	v_fmac_f32_e32 v201, 0x3e9e377a, v173
	v_fmac_f32_e32 v177, 0x3e9e377a, v173
	v_dual_add_f32 v173, v206, v192 :: v_dual_mul_f32 v192, 0x3e9e377a, v185
	v_fmamk_f32 v185, v182, 0xbf737871, v176
	v_fmac_f32_e32 v176, 0x3f737871, v182
	s_delay_alu instid0(VALU_DEP_1) | instskip(NEXT) | instid1(VALU_DEP_1)
	v_fmac_f32_e32 v176, 0x3f167918, v191
	v_fmac_f32_e32 v176, 0x3e9e377a, v198
	s_delay_alu instid0(VALU_DEP_4) | instskip(SKIP_1) | instid1(VALU_DEP_1)
	v_fmac_f32_e32 v185, 0xbf167918, v191
	v_dual_fmac_f32 v172, 0x3e9e377a, v173 :: v_dual_sub_f32 v191, v165, v11
	v_dual_fmac_f32 v185, 0x3e9e377a, v198 :: v_dual_fmac_f32 v186, 0x3e9e377a, v172
	v_fmac_f32_e32 v183, 0x3f4f1bbd, v180
	v_fmamk_f32 v206, v190, 0x3f737871, v194
	v_fmac_f32_e32 v192, 0x3f737871, v172
	v_add_f32_e32 v172, v202, v196
	v_fmac_f32_e32 v194, 0xbf737871, v190
	s_delay_alu instid0(VALU_DEP_4) | instskip(NEXT) | instid1(VALU_DEP_2)
	v_fmac_f32_e32 v206, 0x3f167918, v195
	v_fmac_f32_e32 v194, 0xbf167918, v195
	s_delay_alu instid0(VALU_DEP_2) | instskip(SKIP_2) | instid1(VALU_DEP_3)
	v_dual_sub_f32 v195, v163, v7 :: v_dual_fmac_f32 v206, 0x3e9e377a, v200
	v_dual_fmac_f32 v178, 0x3e9e377a, v173 :: v_dual_add_f32 v179, v201, v192
	v_add_f32_e32 v173, v203, v197
	v_dual_fmac_f32 v189, 0xbf737871, v184 :: v_dual_sub_f32 v182, v206, v210
	s_delay_alu instid0(VALU_DEP_3) | instskip(SKIP_4) | instid1(VALU_DEP_4)
	v_fmac_f32_e32 v207, 0xbe9e377a, v178
	v_fmac_f32_e32 v208, 0x3f737871, v178
	v_add_f32_e32 v175, v206, v210
	v_add_f32_e32 v178, v212, v186
	;; [unrolled: 1-line block ×3, first 2 shown]
	v_dual_add_f32 v180, v199, v207 :: v_dual_add_f32 v181, v177, v208
	ds_store_b128 v218, v[172:175]
	ds_store_b128 v218, v[178:181] offset:16
	v_dual_sub_f32 v175, v203, v197 :: v_dual_sub_f32 v174, v202, v196
	v_sub_f32_e32 v181, v185, v183
	v_sub_f32_e32 v185, v199, v207
	v_fmac_f32_e32 v189, 0xbf167918, v188
	v_sub_f32_e32 v183, v212, v186
	v_dual_fmac_f32 v193, 0x3f167918, v211 :: v_dual_sub_f32 v184, v201, v192
	s_delay_alu instid0(VALU_DEP_3) | instskip(SKIP_1) | instid1(VALU_DEP_3)
	v_dual_fmac_f32 v194, 0x3e9e377a, v200 :: v_dual_fmac_f32 v189, 0x3e9e377a, v209
	v_sub_f32_e32 v179, v171, v9
	v_dual_fmac_f32 v193, 0x3e9e377a, v205 :: v_dual_sub_f32 v186, v177, v208
	v_sub_f32_e32 v177, v164, v162
	s_delay_alu instid0(VALU_DEP_4) | instskip(NEXT) | instid1(VALU_DEP_1)
	v_mul_f32_e32 v173, 0xbf167918, v189
	v_fmac_f32_e32 v173, 0xbf4f1bbd, v193
	s_delay_alu instid0(VALU_DEP_1) | instskip(SKIP_2) | instid1(VALU_DEP_1)
	v_add_f32_e32 v172, v176, v173
	v_sub_f32_e32 v187, v176, v173
	v_dual_mul_f32 v176, 0xbf4f1bbd, v189 :: v_dual_add_f32 v173, v160, v4
	v_fmac_f32_e32 v176, 0x3f167918, v193
	s_delay_alu instid0(VALU_DEP_2) | instskip(NEXT) | instid1(VALU_DEP_2)
	v_fma_f32 v178, -0.5, v173, v166
	v_add_f32_e32 v173, v194, v176
	ds_store_b128 v218, v[172:175] offset:32
	ds_store_b128 v218, v[181:184] offset:48
	v_dual_sub_f32 v182, v161, v5 :: v_dual_sub_f32 v173, v8, v4
	v_sub_f32_e32 v188, v194, v176
	v_add_f32_e32 v176, v161, v5
	v_sub_f32_e32 v172, v170, v160
	v_sub_f32_e32 v184, v170, v8
	v_fmamk_f32 v180, v179, 0xbf737871, v178
	ds_store_b128 v218, v[185:188] offset:64
	v_fma_f32 v183, -0.5, v176, v167
	v_fmac_f32_e32 v178, 0x3f737871, v179
	v_sub_f32_e32 v174, v171, v161
	v_dual_fmac_f32 v180, 0xbf167918, v182 :: v_dual_sub_f32 v175, v9, v5
	s_delay_alu instid0(VALU_DEP_4) | instskip(NEXT) | instid1(VALU_DEP_4)
	v_fmamk_f32 v181, v184, 0x3f737871, v183
	v_fmac_f32_e32 v178, 0x3f167918, v182
	v_fmac_f32_e32 v183, 0xbf737871, v184
	v_sub_f32_e32 v186, v160, v4
	v_dual_add_f32 v172, v172, v173 :: v_dual_add_f32 v173, v174, v175
	v_dual_sub_f32 v175, v11, v7 :: v_dual_add_f32 v176, v162, v6
	s_delay_alu instid0(VALU_DEP_3) | instskip(NEXT) | instid1(VALU_DEP_3)
	v_fmac_f32_e32 v181, 0x3f167918, v186
	v_fmac_f32_e32 v180, 0x3e9e377a, v172
	v_dual_fmac_f32 v178, 0x3e9e377a, v172 :: v_dual_sub_f32 v185, v10, v6
	v_dual_add_f32 v172, v163, v7 :: v_dual_fmac_f32 v183, 0xbf167918, v186
	v_fma_f32 v176, -0.5, v176, v168
	v_sub_f32_e32 v190, v164, v10
	v_sub_f32_e32 v197, v162, v6
	s_delay_alu instid0(VALU_DEP_4) | instskip(SKIP_3) | instid1(VALU_DEP_4)
	v_fma_f32 v172, -0.5, v172, v169
	v_sub_f32_e32 v174, v165, v163
	v_add_f32_e32 v177, v177, v185
	v_fmac_f32_e32 v181, 0x3e9e377a, v173
	v_fmamk_f32 v189, v190, 0x3f737871, v172
	s_delay_alu instid0(VALU_DEP_4) | instskip(SKIP_2) | instid1(VALU_DEP_4)
	v_dual_add_f32 v174, v174, v175 :: v_dual_fmamk_f32 v175, v191, 0xbf737871, v176
	v_fmac_f32_e32 v172, 0xbf737871, v190
	v_fmac_f32_e32 v176, 0x3f737871, v191
	;; [unrolled: 1-line block ×3, first 2 shown]
	s_delay_alu instid0(VALU_DEP_3) | instskip(NEXT) | instid1(VALU_DEP_3)
	v_dual_fmac_f32 v175, 0xbf167918, v195 :: v_dual_fmac_f32 v172, 0xbf167918, v197
	v_fmac_f32_e32 v176, 0x3f167918, v195
	s_delay_alu instid0(VALU_DEP_3) | instskip(NEXT) | instid1(VALU_DEP_3)
	v_fmac_f32_e32 v189, 0x3e9e377a, v174
	v_dual_fmac_f32 v175, 0x3e9e377a, v177 :: v_dual_fmac_f32 v172, 0x3e9e377a, v174
	s_delay_alu instid0(VALU_DEP_3) | instskip(NEXT) | instid1(VALU_DEP_3)
	v_fmac_f32_e32 v176, 0x3e9e377a, v177
	v_dual_mul_f32 v187, 0xbf167918, v189 :: v_dual_add_f32 v174, v168, v164
	s_delay_alu instid0(VALU_DEP_3)
	v_mul_f32_e32 v185, 0xbf167918, v172
	v_mul_f32_e32 v196, 0xbf4f1bbd, v172
	v_add_f32_e32 v172, v166, v170
	v_mul_f32_e32 v188, 0x3f167918, v175
	v_fmac_f32_e32 v183, 0x3e9e377a, v173
	v_fmac_f32_e32 v187, 0x3f4f1bbd, v175
	v_add_f32_e32 v173, v167, v171
	v_add_f32_e32 v175, v169, v165
	v_fmac_f32_e32 v188, 0x3f4f1bbd, v189
	v_fmac_f32_e32 v196, 0x3f167918, v176
	s_delay_alu instid0(VALU_DEP_4) | instskip(NEXT) | instid1(VALU_DEP_4)
	v_dual_add_f32 v172, v172, v160 :: v_dual_add_f32 v173, v173, v161
	v_dual_add_f32 v174, v174, v162 :: v_dual_add_f32 v175, v175, v163
	v_fmac_f32_e32 v185, 0xbf4f1bbd, v176
	s_delay_alu instid0(VALU_DEP_3) | instskip(SKIP_1) | instid1(VALU_DEP_4)
	v_add_f32_e32 v172, v172, v4
	v_sub_f32_e32 v176, v180, v187
	v_dual_add_f32 v174, v174, v6 :: v_dual_add_f32 v173, v173, v5
	v_add_f32_e32 v175, v175, v7
	s_delay_alu instid0(VALU_DEP_4) | instskip(NEXT) | instid1(VALU_DEP_3)
	v_dual_add_f32 v189, v172, v8 :: v_dual_add_f32 v172, v178, v185
	v_dual_add_f32 v192, v174, v10 :: v_dual_add_f32 v193, v173, v9
	s_delay_alu instid0(VALU_DEP_3) | instskip(SKIP_2) | instid1(VALU_DEP_4)
	v_add_f32_e32 v194, v175, v11
	v_add_f32_e32 v173, v183, v196
	v_sub_f32_e32 v177, v181, v188
	v_sub_f32_e32 v174, v189, v192
	s_delay_alu instid0(VALU_DEP_4)
	v_sub_f32_e32 v175, v193, v194
	s_and_saveexec_b32 s1, vcc_lo
	s_cbranch_execz .LBB0_21
; %bb.20:
	v_dual_add_f32 v198, v165, v11 :: v_dual_add_f32 v199, v164, v10
	v_dual_sub_f32 v162, v162, v164 :: v_dual_sub_f32 v163, v163, v165
	v_dual_add_f32 v164, v171, v9 :: v_dual_add_f32 v165, v170, v8
	v_dual_sub_f32 v161, v161, v171 :: v_dual_sub_f32 v160, v160, v170
	v_dual_sub_f32 v7, v7, v11 :: v_dual_sub_f32 v6, v6, v10
	;; [unrolled: 1-line block ×3, first 2 shown]
	s_delay_alu instid0(VALU_DEP_4) | instskip(SKIP_1) | instid1(VALU_DEP_3)
	v_fmac_f32_e32 v167, -0.5, v164
	v_dual_fmac_f32 v169, -0.5, v198 :: v_dual_fmac_f32 v168, -0.5, v199
	v_dual_add_f32 v6, v162, v6 :: v_dual_add_f32 v5, v161, v5
	s_delay_alu instid0(VALU_DEP_3) | instskip(SKIP_1) | instid1(VALU_DEP_4)
	v_fmamk_f32 v10, v186, 0x3f737871, v167
	v_dual_fmac_f32 v167, 0xbf737871, v186 :: v_dual_fmac_f32 v166, -0.5, v165
	v_dual_add_f32 v7, v163, v7 :: v_dual_fmamk_f32 v8, v197, 0x3f737871, v169
	v_fmac_f32_e32 v169, 0xbf737871, v197
	v_dual_fmamk_f32 v9, v195, 0xbf737871, v168 :: v_dual_add_f32 v4, v160, v4
	s_delay_alu instid0(VALU_DEP_4) | instskip(SKIP_1) | instid1(VALU_DEP_4)
	v_fmamk_f32 v164, v182, 0xbf737871, v166
	v_fmac_f32_e32 v166, 0x3f737871, v182
	v_fmac_f32_e32 v169, 0x3f167918, v190
	v_dual_add_f32 v163, v181, v188 :: v_dual_fmac_f32 v8, 0xbf167918, v190
	s_delay_alu instid0(VALU_DEP_4) | instskip(NEXT) | instid1(VALU_DEP_4)
	v_fmac_f32_e32 v164, 0x3f167918, v179
	v_fmac_f32_e32 v166, 0xbf167918, v179
	s_delay_alu instid0(VALU_DEP_4) | instskip(SKIP_1) | instid1(VALU_DEP_4)
	v_fmac_f32_e32 v169, 0x3e9e377a, v7
	v_dual_add_f32 v162, v180, v187 :: v_dual_add_f32 v161, v193, v194
	v_fmac_f32_e32 v164, 0x3e9e377a, v4
	s_delay_alu instid0(VALU_DEP_4)
	v_fmac_f32_e32 v166, 0x3e9e377a, v4
	v_fmac_f32_e32 v167, 0x3f167918, v184
	scratch_load_b32 v4, off, off offset:228 th:TH_LOAD_LU ; 4-byte Folded Reload
	v_fmac_f32_e32 v9, 0x3f167918, v191
	v_dual_fmac_f32 v8, 0x3e9e377a, v7 :: v_dual_sub_f32 v7, v183, v196
	v_dual_fmac_f32 v167, 0x3e9e377a, v5 :: v_dual_add_f32 v160, v189, v192
	s_delay_alu instid0(VALU_DEP_3) | instskip(NEXT) | instid1(VALU_DEP_3)
	v_fmac_f32_e32 v9, 0x3e9e377a, v6
	v_mul_f32_e32 v11, 0xbe9e377a, v8
	v_fmac_f32_e32 v168, 0x3f737871, v195
	v_mul_f32_e32 v165, 0xbf737871, v8
	s_delay_alu instid0(VALU_DEP_3) | instskip(NEXT) | instid1(VALU_DEP_3)
	v_fmac_f32_e32 v11, 0x3f737871, v9
	v_fmac_f32_e32 v168, 0xbf167918, v191
	s_delay_alu instid0(VALU_DEP_3) | instskip(NEXT) | instid1(VALU_DEP_2)
	v_fmac_f32_e32 v165, 0xbe9e377a, v9
	v_fmac_f32_e32 v168, 0x3e9e377a, v6
	v_mul_f32_e32 v6, 0x3e9e377a, v169
	s_delay_alu instid0(VALU_DEP_1) | instskip(NEXT) | instid1(VALU_DEP_1)
	v_fmac_f32_e32 v6, 0x3f737871, v168
	v_dual_fmac_f32 v10, 0xbf167918, v184 :: v_dual_add_f32 v9, v167, v6
	s_delay_alu instid0(VALU_DEP_1) | instskip(SKIP_2) | instid1(VALU_DEP_3)
	v_fmac_f32_e32 v10, 0x3e9e377a, v5
	v_mul_f32_e32 v169, 0xbf737871, v169
	v_dual_sub_f32 v179, v167, v6 :: v_dual_sub_f32 v6, v178, v185
	v_sub_f32_e32 v5, v10, v11
	s_delay_alu instid0(VALU_DEP_3) | instskip(SKIP_1) | instid1(VALU_DEP_2)
	v_fmac_f32_e32 v169, 0x3e9e377a, v168
	v_dual_add_f32 v11, v10, v11 :: v_dual_add_f32 v10, v164, v165
	v_add_f32_e32 v8, v166, v169
	s_wait_loadcnt 0x0
	v_dual_sub_f32 v178, v166, v169 :: v_dual_lshlrev_b32 v167, 3, v4
	v_sub_f32_e32 v4, v164, v165
	ds_store_b128 v167, v[160:163]
	ds_store_b128 v167, v[8:11] offset:16
	ds_store_b128 v167, v[172:175] offset:32
	;; [unrolled: 1-line block ×4, first 2 shown]
.LBB0_21:
	s_wait_alu 0xfffe
	s_or_b32 exec_lo, exec_lo, s1
	v_add_nc_u32_e32 v4, 0x1400, v255
	global_wb scope:SCOPE_SE
	s_wait_dscnt 0x0
	s_barrier_signal -1
	s_barrier_wait -1
	global_inv scope:SCOPE_SE
	ds_load_2addr_b64 v[198:201], v4 offset0:110 offset1:200
	v_add_nc_u32_e32 v4, 0x2c00, v255
	v_add_nc_u32_e32 v5, 0x400, v255
	;; [unrolled: 1-line block ×5, first 2 shown]
	ds_load_2addr_b64 v[202:205], v4 offset0:92 offset1:182
	ds_load_2addr_b64 v[160:163], v5 offset0:52 offset1:142
	;; [unrolled: 1-line block ×5, first 2 shown]
	v_add_nc_u32_e32 v8, 0x2000, v255
	v_add_nc_u32_e32 v9, 0x3800, v255
	;; [unrolled: 1-line block ×5, first 2 shown]
	ds_load_2addr_b64 v[186:189], v8 offset0:86 offset1:176
	ds_load_2addr_b64 v[182:185], v9 offset0:68 offset1:158
	ds_load_2addr_b64 v[8:11], v10 offset0:28 offset1:118
	ds_load_2addr_b64 v[178:181], v164 offset0:10 offset1:100
	ds_load_2addr_b64 v[168:171], v165 offset0:120 offset1:210
	ds_load_2addr_b64 v[164:167], v255 offset1:90
	s_and_saveexec_b32 s1, s0
	s_cbranch_execz .LBB0_23
; %bb.22:
	ds_load_b64 v[172:173], v255 offset:5760
	ds_load_b64 v[174:175], v255 offset:11760
	;; [unrolled: 1-line block ×3, first 2 shown]
.LBB0_23:
	s_wait_alu 0xfffe
	s_or_b32 exec_lo, exec_lo, s1
	s_wait_dscnt 0xb
	v_mul_f32_e32 v206, v33, v199
	v_mul_f32_e32 v33, v33, v198
	global_wb scope:SCOPE_SE
	s_wait_dscnt 0x0
	s_barrier_signal -1
	s_barrier_wait -1
	v_fmac_f32_e32 v206, v32, v198
	v_fma_f32 v32, v32, v199, -v33
	v_mul_f32_e32 v33, v35, v203
	v_mul_f32_e32 v35, v35, v202
	global_inv scope:SCOPE_SE
	v_fmac_f32_e32 v33, v34, v202
	v_fma_f32 v34, v34, v203, -v35
	v_mul_f32_e32 v35, v25, v201
	v_mul_f32_e32 v25, v25, v200
	s_delay_alu instid0(VALU_DEP_2) | instskip(NEXT) | instid1(VALU_DEP_2)
	v_fmac_f32_e32 v35, v24, v200
	v_fma_f32 v24, v24, v201, -v25
	v_mul_f32_e32 v25, v27, v205
	v_mul_f32_e32 v27, v27, v204
	s_delay_alu instid0(VALU_DEP_2) | instskip(NEXT) | instid1(VALU_DEP_2)
	;; [unrolled: 5-line block ×3, first 2 shown]
	v_fmac_f32_e32 v27, v16, v194
	v_fma_f32 v194, v16, v195, -v17
	v_mul_f32_e32 v195, v19, v191
	v_dual_mul_f32 v16, v19, v190 :: v_dual_mul_f32 v19, v13, v197
	v_mul_f32_e32 v13, v13, v196
	s_delay_alu instid0(VALU_DEP_3) | instskip(NEXT) | instid1(VALU_DEP_3)
	v_fmac_f32_e32 v195, v18, v190
	v_fma_f32 v18, v18, v191, -v16
	s_delay_alu instid0(VALU_DEP_4) | instskip(NEXT) | instid1(VALU_DEP_4)
	v_fmac_f32_e32 v19, v12, v196
	v_fma_f32 v190, v12, v197, -v13
	v_mul_f32_e32 v191, v15, v193
	v_mul_f32_e32 v12, v15, v192
	s_delay_alu instid0(VALU_DEP_2) | instskip(NEXT) | instid1(VALU_DEP_2)
	v_fmac_f32_e32 v191, v14, v192
	v_fma_f32 v192, v14, v193, -v12
	v_add_f32_e32 v14, v206, v33
	v_mul_f32_e32 v12, v41, v186
	v_add_f32_e32 v15, v32, v34
	s_delay_alu instid0(VALU_DEP_3) | instskip(SKIP_2) | instid1(VALU_DEP_4)
	v_fma_f32 v14, -0.5, v14, v164
	v_mul_f32_e32 v193, v41, v187
	v_mul_f32_e32 v41, v43, v183
	v_fma_f32 v15, -0.5, v15, v165
	s_delay_alu instid0(VALU_DEP_3) | instskip(SKIP_4) | instid1(VALU_DEP_3)
	v_fmac_f32_e32 v193, v40, v186
	v_fma_f32 v40, v40, v187, -v12
	v_mul_f32_e32 v12, v43, v182
	v_fmac_f32_e32 v41, v42, v182
	v_mul_f32_e32 v43, v37, v189
	v_fma_f32 v42, v42, v183, -v12
	v_mul_f32_e32 v12, v37, v188
	s_delay_alu instid0(VALU_DEP_3) | instskip(SKIP_1) | instid1(VALU_DEP_3)
	v_fmac_f32_e32 v43, v36, v188
	v_mul_f32_e32 v37, v39, v185
	v_fma_f32 v36, v36, v189, -v12
	v_mul_f32_e32 v12, v39, v184
	s_delay_alu instid0(VALU_DEP_3) | instskip(SKIP_1) | instid1(VALU_DEP_3)
	;; [unrolled: 5-line block ×4, first 2 shown]
	v_fmac_f32_e32 v29, v30, v168
	v_dual_mul_f32 v31, v21, v181 :: v_dual_mul_f32 v168, v23, v171
	v_fma_f32 v30, v30, v169, -v12
	v_mul_f32_e32 v12, v21, v180
	s_delay_alu instid0(VALU_DEP_3) | instskip(NEXT) | instid1(VALU_DEP_2)
	v_dual_fmac_f32 v31, v20, v180 :: v_dual_fmac_f32 v168, v22, v170
	v_fma_f32 v20, v20, v181, -v12
	v_dual_mul_f32 v12, v23, v170 :: v_dual_sub_f32 v23, v206, v33
	s_delay_alu instid0(VALU_DEP_1) | instskip(SKIP_2) | instid1(VALU_DEP_2)
	v_fma_f32 v21, v22, v171, -v12
	v_sub_f32_e32 v22, v32, v34
	v_add_f32_e32 v12, v164, v206
	v_fmamk_f32 v16, v22, 0xbf5db3d7, v14
	v_dual_fmac_f32 v14, 0x3f5db3d7, v22 :: v_dual_add_f32 v13, v165, v32
	scratch_load_b32 v32, off, off offset:168 th:TH_LOAD_LU ; 4-byte Folded Reload
	v_fmamk_f32 v17, v23, 0x3f5db3d7, v15
	v_fmac_f32_e32 v15, 0xbf5db3d7, v23
	s_clause 0x1
	scratch_load_b32 v23, off, off offset:176 th:TH_LOAD_LU
	scratch_load_b32 v22, off, off offset:164 th:TH_LOAD_LU
	v_dual_add_f32 v12, v12, v33 :: v_dual_add_f32 v13, v13, v34
	s_wait_loadcnt 0x2
	ds_store_2addr_b64 v32, v[12:13], v[16:17] offset1:10
	ds_store_b64 v32, v[14:15] offset:160
	v_dual_add_f32 v12, v35, v25 :: v_dual_add_f32 v15, v24, v26
	v_add_f32_e32 v14, v166, v35
	v_dual_sub_f32 v16, v24, v26 :: v_dual_sub_f32 v17, v35, v25
	s_delay_alu instid0(VALU_DEP_3) | instskip(NEXT) | instid1(VALU_DEP_4)
	v_fma_f32 v166, -0.5, v12, v166
	v_dual_add_f32 v12, v167, v24 :: v_dual_fmac_f32 v167, -0.5, v15
	s_delay_alu instid0(VALU_DEP_1) | instskip(SKIP_1) | instid1(VALU_DEP_4)
	v_dual_add_f32 v24, v11, v20 :: v_dual_add_f32 v13, v12, v26
	v_add_f32_e32 v12, v14, v25
	v_fmamk_f32 v14, v16, 0xbf5db3d7, v166
	s_delay_alu instid0(VALU_DEP_4)
	v_dual_fmamk_f32 v15, v17, 0x3f5db3d7, v167 :: v_dual_fmac_f32 v166, 0x3f5db3d7, v16
	v_fmac_f32_e32 v167, 0xbf5db3d7, v17
	s_wait_loadcnt 0x0
	ds_store_2addr_b64 v22, v[12:13], v[14:15] offset1:10
	v_add_f32_e32 v13, v161, v194
	v_add_f32_e32 v15, v194, v18
	ds_store_b64 v22, v[166:167] offset:160
	v_sub_f32_e32 v22, v194, v18
	v_dual_add_f32 v14, v27, v195 :: v_dual_add_f32 v13, v13, v18
	v_fma_f32 v15, -0.5, v15, v161
	v_sub_f32_e32 v18, v27, v195
	v_add_f32_e32 v12, v160, v27
	s_delay_alu instid0(VALU_DEP_4) | instskip(NEXT) | instid1(VALU_DEP_3)
	v_fma_f32 v14, -0.5, v14, v160
	v_fmamk_f32 v17, v18, 0x3f5db3d7, v15
	v_fmac_f32_e32 v15, 0xbf5db3d7, v18
	scratch_load_b32 v18, off, off offset:172 th:TH_LOAD_LU ; 4-byte Folded Reload
	v_add_f32_e32 v12, v12, v195
	v_fmamk_f32 v16, v22, 0xbf5db3d7, v14
	v_fmac_f32_e32 v14, 0x3f5db3d7, v22
	v_sub_f32_e32 v22, v39, v29
	ds_store_2addr_b64 v23, v[12:13], v[16:17] offset1:10
	ds_store_b64 v23, v[14:15] offset:160
	v_add_f32_e32 v12, v19, v191
	v_add_f32_e32 v14, v162, v19
	v_sub_f32_e32 v17, v19, v191
	scratch_load_b32 v19, off, off offset:160 th:TH_LOAD_LU ; 4-byte Folded Reload
	v_add_f32_e32 v15, v190, v192
	v_fma_f32 v162, -0.5, v12, v162
	v_add_f32_e32 v12, v163, v190
	v_dual_sub_f32 v16, v190, v192 :: v_dual_sub_f32 v23, v20, v21
	s_delay_alu instid0(VALU_DEP_4) | instskip(NEXT) | instid1(VALU_DEP_3)
	v_fmac_f32_e32 v163, -0.5, v15
	v_dual_add_f32 v13, v12, v192 :: v_dual_add_f32 v12, v14, v191
	s_delay_alu instid0(VALU_DEP_3) | instskip(NEXT) | instid1(VALU_DEP_3)
	v_fmamk_f32 v14, v16, 0xbf5db3d7, v162
	v_dual_fmamk_f32 v15, v17, 0x3f5db3d7, v163 :: v_dual_fmac_f32 v162, 0x3f5db3d7, v16
	v_dual_fmac_f32 v163, 0xbf5db3d7, v17 :: v_dual_add_f32 v16, v5, v40
	v_sub_f32_e32 v17, v40, v42
	s_wait_loadcnt 0x1
	ds_store_2addr_b64 v18, v[12:13], v[14:15] offset1:10
	v_mul_f32_e32 v12, v3, v177
	v_add_f32_e32 v14, v40, v42
	ds_store_b64 v18, v[162:163] offset:160
	v_add_f32_e32 v15, v4, v193
	v_sub_f32_e32 v18, v193, v41
	v_dual_fmac_f32 v12, v2, v176 :: v_dual_add_f32 v13, v193, v41
	v_fma_f32 v5, -0.5, v14, v5
	v_add_f32_e32 v14, v16, v42
	s_delay_alu instid0(VALU_DEP_3) | instskip(NEXT) | instid1(VALU_DEP_3)
	v_fma_f32 v4, -0.5, v13, v4
	v_dual_add_f32 v13, v15, v41 :: v_dual_fmamk_f32 v16, v18, 0x3f5db3d7, v5
	v_dual_fmac_f32 v5, 0xbf5db3d7, v18 :: v_dual_sub_f32 v18, v43, v37
	s_delay_alu instid0(VALU_DEP_3)
	v_fmamk_f32 v15, v17, 0xbf5db3d7, v4
	v_fmac_f32_e32 v4, 0x3f5db3d7, v17
	s_wait_loadcnt 0x0
	ds_store_2addr_b64 v19, v[13:14], v[15:16] offset1:10
	v_add_f32_e32 v14, v36, v38
	v_add_f32_e32 v16, v39, v29
	;; [unrolled: 1-line block ×3, first 2 shown]
	ds_store_b64 v19, v[4:5] offset:160
	v_add_f32_e32 v5, v28, v30
	v_fmac_f32_e32 v7, -0.5, v14
	v_fma_f32 v17, -0.5, v16, v8
	v_mul_f32_e32 v3, v3, v176
	v_dual_add_f32 v13, v6, v43 :: v_dual_add_f32 v14, v15, v38
	s_delay_alu instid0(VALU_DEP_4) | instskip(SKIP_1) | instid1(VALU_DEP_4)
	v_fmamk_f32 v16, v18, 0x3f5db3d7, v7
	v_fmac_f32_e32 v7, 0xbf5db3d7, v18
	v_fma_f32 v2, v2, v177, -v3
	v_fma_f32 v18, -0.5, v5, v9
	v_mul_f32_e32 v3, v1, v175
	v_mul_f32_e32 v1, v1, v174
	v_add_f32_e32 v19, v9, v28
	v_add_f32_e32 v5, v31, v168
	s_delay_alu instid0(VALU_DEP_4) | instskip(NEXT) | instid1(VALU_DEP_4)
	v_fmac_f32_e32 v3, v0, v174
	v_fma_f32 v0, v0, v175, -v1
	v_add_f32_e32 v1, v43, v37
	v_add_f32_e32 v9, v19, v30
	s_delay_alu instid0(VALU_DEP_2) | instskip(SKIP_1) | instid1(VALU_DEP_1)
	v_fma_f32 v6, -0.5, v1, v6
	v_sub_f32_e32 v1, v36, v38
	v_fmamk_f32 v15, v1, 0xbf5db3d7, v6
	v_dual_fmac_f32 v6, 0x3f5db3d7, v1 :: v_dual_sub_f32 v1, v28, v30
	s_delay_alu instid0(VALU_DEP_1) | instskip(SKIP_2) | instid1(VALU_DEP_1)
	v_fmamk_f32 v4, v1, 0xbf5db3d7, v17
	v_fmac_f32_e32 v17, 0x3f5db3d7, v1
	v_add_f32_e32 v1, v8, v39
	v_dual_add_f32 v8, v1, v29 :: v_dual_add_f32 v1, v10, v31
	v_fma_f32 v10, -0.5, v5, v10
	v_fmamk_f32 v5, v22, 0x3f5db3d7, v18
	v_fmac_f32_e32 v18, 0xbf5db3d7, v22
	v_add_f32_e32 v22, v3, v12
	v_add_f32_e32 v19, v1, v168
	;; [unrolled: 1-line block ×3, first 2 shown]
	v_dual_add_f32 v20, v24, v21 :: v_dual_fmamk_f32 v21, v23, 0xbf5db3d7, v10
	s_delay_alu instid0(VALU_DEP_4) | instskip(NEXT) | instid1(VALU_DEP_3)
	v_fma_f32 v160, -0.5, v22, v172
	v_dual_fmac_f32 v10, 0x3f5db3d7, v23 :: v_dual_fmac_f32 v11, -0.5, v1
	v_sub_f32_e32 v1, v31, v168
	v_add_f32_e32 v23, v0, v2
	v_sub_f32_e32 v24, v0, v2
	s_delay_alu instid0(VALU_DEP_3) | instskip(NEXT) | instid1(VALU_DEP_2)
	v_fmamk_f32 v22, v1, 0x3f5db3d7, v11
	v_dual_fmac_f32 v11, 0xbf5db3d7, v1 :: v_dual_fmamk_f32 v162, v24, 0xbf5db3d7, v160
	scratch_load_b32 v1, off, off offset:156 th:TH_LOAD_LU ; 4-byte Folded Reload
	v_add_f32_e32 v13, v13, v37
	v_fma_f32 v161, -0.5, v23, v173
	v_fmac_f32_e32 v160, 0x3f5db3d7, v24
	v_sub_f32_e32 v23, v3, v12
	s_wait_loadcnt 0x0
	ds_store_2addr_b64 v1, v[13:14], v[15:16] offset1:10
	ds_store_b64 v1, v[6:7] offset:160
	scratch_load_b32 v1, off, off offset:152 th:TH_LOAD_LU ; 4-byte Folded Reload
	v_fmamk_f32 v163, v23, 0x3f5db3d7, v161
	v_fmac_f32_e32 v161, 0xbf5db3d7, v23
	s_wait_loadcnt 0x0
	ds_store_2addr_b64 v1, v[8:9], v[4:5] offset1:10
	ds_store_b64 v1, v[17:18] offset:160
	scratch_load_b32 v1, off, off offset:148 th:TH_LOAD_LU ; 4-byte Folded Reload
	s_wait_loadcnt 0x0
	ds_store_2addr_b64 v1, v[19:20], v[21:22] offset1:10
	ds_store_b64 v1, v[10:11] offset:160
	s_and_saveexec_b32 s1, s0
	s_cbranch_execz .LBB0_25
; %bb.24:
	scratch_load_b32 v1, off, off offset:144 th:TH_LOAD_LU ; 4-byte Folded Reload
	v_dual_add_f32 v0, v173, v0 :: v_dual_add_f32 v3, v172, v3
	s_wait_loadcnt 0x0
	s_delay_alu instid0(VALU_DEP_1) | instskip(NEXT) | instid1(VALU_DEP_2)
	v_dual_add_f32 v1, v0, v2 :: v_dual_and_b32 v4, 0xffff, v1
	v_add_f32_e32 v0, v3, v12
	s_delay_alu instid0(VALU_DEP_2)
	v_lshlrev_b32_e32 v2, 3, v4
	ds_store_2addr_b64 v2, v[0:1], v[162:163] offset1:10
	ds_store_b64 v2, v[160:161] offset:160
.LBB0_25:
	s_wait_alu 0xfffe
	s_or_b32 exec_lo, exec_lo, s1
	v_add_nc_u32_e32 v18, 0x800, v255
	global_wb scope:SCOPE_SE
	s_wait_dscnt 0x0
	s_barrier_signal -1
	s_barrier_wait -1
	global_inv scope:SCOPE_SE
	ds_load_2addr_b64 v[0:3], v18 offset0:104 offset1:194
	v_add_nc_u32_e32 v21, 0x1800, v255
	v_add_nc_u32_e32 v19, 0x3800, v255
	ds_load_2addr_b64 v[4:7], v255 offset1:90
	ds_load_2addr_b64 v[12:15], v21 offset0:132 offset1:222
	v_add_nc_u32_e32 v20, 0x1000, v255
	v_add_nc_u32_e32 v23, 0x2000, v255
	s_wait_dscnt 0x2
	v_mul_f32_e32 v43, v53, v3
	v_dual_mul_f32 v53, v53, v2 :: v_dual_add_nc_u32 v8, 0x2400, v255
	s_delay_alu instid0(VALU_DEP_2)
	v_fmac_f32_e32 v43, v52, v2
	ds_load_2addr_b64 v[31:34], v8 offset0:108 offset1:198
	v_add_nc_u32_e32 v22, 0x2800, v255
	s_wait_dscnt 0x1
	v_dual_mul_f32 v181, v55, v13 :: v_dual_add_nc_u32 v24, 0x400, v255
	v_mul_f32_e32 v2, v55, v12
	v_add_nc_u32_e32 v164, 0x3c00, v255
	v_fma_f32 v52, v52, v3, -v53
	s_delay_alu instid0(VALU_DEP_4) | instskip(NEXT) | instid1(VALU_DEP_4)
	v_fmac_f32_e32 v181, v54, v12
	v_fma_f32 v53, v54, v13, -v2
	s_wait_dscnt 0x0
	v_mul_f32_e32 v55, v57, v34
	v_mul_f32_e32 v57, v57, v33
	ds_load_b64 v[16:17], v255 offset:17280
	ds_load_2addr_b64 v[27:30], v19 offset0:8 offset1:98
	ds_load_2addr_b64 v[35:38], v20 offset0:28 offset1:118
	;; [unrolled: 1-line block ×5, first 2 shown]
	v_add_nc_u32_e32 v26, 0x1400, v255
	v_add_nc_u32_e32 v25, 0x3000, v255
	v_fmac_f32_e32 v55, v56, v33
	v_fma_f32 v34, v56, v34, -v57
	s_wait_dscnt 0x4
	v_mul_f32_e32 v12, v51, v29
	ds_load_2addr_b64 v[169:172], v164 offset0:60 offset1:150
	ds_load_2addr_b64 v[173:176], v26 offset0:80 offset1:170
	ds_load_2addr_b64 v[177:180], v25 offset0:84 offset1:174
	s_wait_dscnt 0x6
	v_mul_f32_e32 v54, v45, v36
	v_mul_f32_e32 v3, v45, v35
	;; [unrolled: 1-line block ×4, first 2 shown]
	s_delay_alu instid0(VALU_DEP_4) | instskip(NEXT) | instid1(VALU_DEP_4)
	v_dual_mul_f32 v13, v59, v28 :: v_dual_fmac_f32 v54, v44, v35
	v_fma_f32 v44, v44, v36, -v3
	s_delay_alu instid0(VALU_DEP_4) | instskip(NEXT) | instid1(VALU_DEP_4)
	v_fmac_f32_e32 v45, v46, v14
	v_fma_f32 v56, v58, v28, -v2
	s_wait_dscnt 0x5
	v_dual_mul_f32 v2, v47, v14 :: v_dual_mul_f32 v47, v49, v40
	s_wait_dscnt 0x3
	v_mul_f32_e32 v57, v83, v166
	v_dual_fmac_f32 v13, v58, v27 :: v_dual_mul_f32 v58, v77, v42
	s_delay_alu instid0(VALU_DEP_3)
	v_fma_f32 v46, v46, v15, -v2
	v_dual_mul_f32 v2, v81, v37 :: v_dual_sub_f32 v15, v52, v56
	v_mul_f32_e32 v3, v49, v39
	v_mul_f32_e32 v49, v51, v30
	v_fmac_f32_e32 v47, v48, v39
	v_mul_f32_e32 v51, v81, v38
	v_fma_f32 v59, v80, v38, -v2
	v_fma_f32 v48, v48, v40, -v3
	v_mul_f32_e32 v2, v77, v41
	v_fmac_f32_e32 v49, v50, v29
	v_fma_f32 v50, v50, v30, -v12
	s_wait_dscnt 0x1
	v_dual_mul_f32 v30, v65, v176 :: v_dual_mul_f32 v3, v83, v165
	v_fmac_f32_e32 v51, v80, v37
	v_dual_mul_f32 v77, v79, v170 :: v_dual_mul_f32 v12, v73, v173
	s_delay_alu instid0(VALU_DEP_3) | instskip(NEXT) | instid1(VALU_DEP_4)
	v_fmac_f32_e32 v30, v64, v175
	v_fma_f32 v80, v82, v166, -v3
	v_mul_f32_e32 v3, v79, v169
	v_mul_f32_e32 v79, v73, v174
	v_dual_sub_f32 v35, v53, v34 :: v_dual_fmac_f32 v58, v76, v41
	v_fma_f32 v73, v76, v42, -v2
	s_delay_alu instid0(VALU_DEP_3)
	v_dual_mul_f32 v2, v75, v167 :: v_dual_fmac_f32 v79, v72, v173
	v_fma_f32 v72, v72, v174, -v12
	v_mul_f32_e32 v12, v67, v31
	v_dual_mul_f32 v29, v67, v32 :: v_dual_add_f32 v38, v53, v34
	v_fmac_f32_e32 v57, v82, v165
	v_sub_f32_e32 v14, v43, v181
	s_delay_alu instid0(VALU_DEP_4)
	v_fma_f32 v28, v66, v32, -v12
	s_wait_dscnt 0x0
	v_dual_mul_f32 v32, v61, v180 :: v_dual_fmac_f32 v77, v78, v169
	v_add_f32_e32 v12, v4, v43
	v_fma_f32 v76, v78, v170, -v3
	v_dual_mul_f32 v78, v75, v168 :: v_dual_mul_f32 v75, v69, v178
	v_mul_f32_e32 v3, v69, v177
	v_sub_f32_e32 v33, v13, v55
	v_fmac_f32_e32 v29, v66, v31
	s_delay_alu instid0(VALU_DEP_4)
	v_fmac_f32_e32 v78, v74, v167
	v_fma_f32 v74, v74, v168, -v2
	v_dual_mul_f32 v2, v71, v171 :: v_dual_fmac_f32 v75, v68, v177
	v_fma_f32 v68, v68, v178, -v3
	v_mul_f32_e32 v3, v65, v175
	v_add_f32_e32 v37, v14, v33
	s_delay_alu instid0(VALU_DEP_4)
	v_fma_f32 v65, v70, v172, -v2
	v_add_f32_e32 v2, v181, v55
	v_add_f32_e32 v36, v43, v13
	v_fma_f32 v27, v64, v176, -v3
	v_mul_f32_e32 v3, v61, v179
	v_mul_f32_e32 v61, v63, v17
	v_fma_f32 v2, -0.5, v2, v4
	v_fma_f32 v4, -0.5, v36, v4
	v_add_f32_e32 v36, v5, v52
	v_fma_f32 v31, v60, v180, -v3
	s_delay_alu instid0(VALU_DEP_4) | instskip(NEXT) | instid1(VALU_DEP_4)
	v_dual_add_f32 v3, v12, v181 :: v_dual_fmamk_f32 v12, v15, 0xbf737871, v2
	v_fmamk_f32 v14, v35, 0x3f737871, v4
	v_dual_fmac_f32 v4, 0xbf737871, v35 :: v_dual_fmac_f32 v61, v62, v16
	v_mul_f32_e32 v16, v63, v16
	s_delay_alu instid0(VALU_DEP_4) | instskip(NEXT) | instid1(VALU_DEP_4)
	v_fmac_f32_e32 v12, 0xbf167918, v35
	v_dual_fmac_f32 v14, 0xbf167918, v15 :: v_dual_mul_f32 v69, v71, v172
	v_add_f32_e32 v3, v3, v55
	s_delay_alu instid0(VALU_DEP_4) | instskip(NEXT) | instid1(VALU_DEP_4)
	v_fma_f32 v33, v62, v17, -v16
	v_fmac_f32_e32 v12, 0x3e9e377a, v37
	v_sub_f32_e32 v17, v55, v13
	s_delay_alu instid0(VALU_DEP_4) | instskip(SKIP_3) | instid1(VALU_DEP_3)
	v_dual_fmac_f32 v69, v70, v171 :: v_dual_add_f32 v16, v3, v13
	v_dual_sub_f32 v3, v181, v43 :: v_dual_add_f32 v40, v6, v54
	v_fmac_f32_e32 v2, 0x3f737871, v15
	v_sub_f32_e32 v42, v49, v47
	v_dual_fmac_f32 v4, 0x3f167918, v15 :: v_dual_add_f32 v17, v3, v17
	v_sub_f32_e32 v39, v56, v34
	v_sub_f32_e32 v41, v46, v48
	v_fma_f32 v3, -0.5, v38, v5
	v_sub_f32_e32 v38, v43, v13
	v_fmac_f32_e32 v14, 0x3e9e377a, v17
	v_dual_fmac_f32 v2, 0x3f167918, v35 :: v_dual_add_f32 v35, v36, v53
	v_add_f32_e32 v43, v54, v49
	s_delay_alu instid0(VALU_DEP_4) | instskip(NEXT) | instid1(VALU_DEP_3)
	v_dual_fmamk_f32 v13, v38, 0x3f737871, v3 :: v_dual_sub_f32 v36, v181, v55
	v_dual_fmac_f32 v2, 0x3e9e377a, v37 :: v_dual_add_f32 v15, v35, v34
	v_add_f32_e32 v35, v52, v56
	v_dual_sub_f32 v37, v52, v53 :: v_dual_sub_f32 v34, v34, v56
	s_delay_alu instid0(VALU_DEP_4) | instskip(SKIP_1) | instid1(VALU_DEP_4)
	v_fmac_f32_e32 v13, 0x3f167918, v36
	v_fmac_f32_e32 v4, 0x3e9e377a, v17
	v_fma_f32 v5, -0.5, v35, v5
	s_delay_alu instid0(VALU_DEP_4) | instskip(SKIP_3) | instid1(VALU_DEP_4)
	v_add_f32_e32 v35, v37, v39
	v_sub_f32_e32 v37, v53, v52
	v_dual_add_f32 v39, v45, v47 :: v_dual_add_f32 v52, v46, v48
	v_add_f32_e32 v55, v78, v75
	v_fmac_f32_e32 v13, 0x3e9e377a, v35
	s_delay_alu instid0(VALU_DEP_4) | instskip(NEXT) | instid1(VALU_DEP_4)
	v_add_f32_e32 v37, v37, v34
	v_fma_f32 v34, -0.5, v39, v6
	v_fma_f32 v6, -0.5, v43, v6
	v_fmac_f32_e32 v3, 0xbf737871, v38
	v_sub_f32_e32 v39, v44, v50
	v_dual_add_f32 v43, v7, v44 :: v_dual_fmac_f32 v32, v60, v179
	v_sub_f32_e32 v63, v65, v68
	s_delay_alu instid0(VALU_DEP_4)
	v_fmac_f32_e32 v3, 0xbf167918, v36
	v_add_f32_e32 v67, v30, v61
	global_wb scope:SCOPE_SE
	s_barrier_signal -1
	s_barrier_wait -1
	v_fmac_f32_e32 v3, 0x3e9e377a, v35
	v_add_f32_e32 v35, v40, v45
	v_sub_f32_e32 v40, v54, v45
	global_inv scope:SCOPE_SE
	v_add_f32_e32 v64, v29, v32
	v_sub_f32_e32 v66, v28, v31
	v_dual_add_f32 v35, v35, v47 :: v_dual_add_f32 v42, v40, v42
	v_add_f32_e32 v17, v15, v56
	v_fmamk_f32 v15, v36, 0xbf737871, v5
	v_dual_fmac_f32 v5, 0x3f737871, v36 :: v_dual_fmamk_f32 v40, v41, 0x3f737871, v6
	v_fmamk_f32 v36, v39, 0xbf737871, v34
	v_fmac_f32_e32 v34, 0x3f737871, v39
	v_fmac_f32_e32 v6, 0xbf737871, v41
	;; [unrolled: 1-line block ×3, first 2 shown]
	s_delay_alu instid0(VALU_DEP_4) | instskip(NEXT) | instid1(VALU_DEP_4)
	v_dual_fmac_f32 v5, 0xbf167918, v38 :: v_dual_fmac_f32 v36, 0xbf167918, v41
	v_fmac_f32_e32 v34, 0x3f167918, v41
	v_dual_add_f32 v38, v35, v49 :: v_dual_sub_f32 v35, v45, v54
	s_delay_alu instid0(VALU_DEP_3) | instskip(NEXT) | instid1(VALU_DEP_3)
	v_dual_fmac_f32 v5, 0x3e9e377a, v37 :: v_dual_fmac_f32 v36, 0x3e9e377a, v42
	v_fmac_f32_e32 v34, 0x3e9e377a, v42
	v_fmac_f32_e32 v6, 0x3f167918, v39
	;; [unrolled: 1-line block ×3, first 2 shown]
	v_sub_f32_e32 v37, v47, v49
	v_dual_sub_f32 v45, v45, v47 :: v_dual_sub_f32 v42, v44, v46
	v_sub_f32_e32 v47, v50, v48
	v_add_f32_e32 v41, v44, v50
	s_delay_alu instid0(VALU_DEP_4)
	v_add_f32_e32 v53, v35, v37
	v_add_f32_e32 v37, v43, v46
	v_fma_f32 v35, -0.5, v52, v7
	v_add_f32_e32 v47, v42, v47
	v_sub_f32_e32 v42, v46, v44
	v_sub_f32_e32 v44, v48, v50
	v_add_f32_e32 v46, v57, v58
	v_add_f32_e32 v52, v51, v77
	v_dual_fmac_f32 v40, 0xbf167918, v39 :: v_dual_add_f32 v39, v37, v48
	s_delay_alu instid0(VALU_DEP_4)
	v_add_f32_e32 v48, v42, v44
	v_add_f32_e32 v44, v8, v51
	v_fma_f32 v42, -0.5, v46, v8
	v_fma_f32 v8, -0.5, v52, v8
	v_dual_sub_f32 v43, v54, v49 :: v_dual_sub_f32 v54, v57, v58
	v_dual_sub_f32 v49, v59, v76 :: v_dual_add_f32 v56, v10, v79
	v_add_f32_e32 v39, v39, v50
	s_delay_alu instid0(VALU_DEP_3) | instskip(SKIP_2) | instid1(VALU_DEP_3)
	v_fmamk_f32 v37, v43, 0x3f737871, v35
	v_dual_fmac_f32 v35, 0xbf737871, v43 :: v_dual_sub_f32 v46, v51, v57
	v_sub_f32_e32 v50, v77, v58
	v_dual_add_f32 v52, v9, v59 :: v_dual_fmac_f32 v37, 0x3f167918, v45
	s_delay_alu instid0(VALU_DEP_3) | instskip(NEXT) | instid1(VALU_DEP_2)
	v_fmac_f32_e32 v35, 0xbf167918, v45
	v_dual_sub_f32 v62, v79, v69 :: v_dual_fmac_f32 v37, 0x3e9e377a, v47
	s_delay_alu instid0(VALU_DEP_2) | instskip(SKIP_2) | instid1(VALU_DEP_1)
	v_fmac_f32_e32 v35, 0x3e9e377a, v47
	v_sub_f32_e32 v47, v80, v73
	v_fmac_f32_e32 v7, -0.5, v41
	v_fmamk_f32 v41, v45, 0xbf737871, v7
	v_fmac_f32_e32 v7, 0x3f737871, v45
	v_add_f32_e32 v45, v44, v57
	s_delay_alu instid0(VALU_DEP_3) | instskip(NEXT) | instid1(VALU_DEP_3)
	v_fmac_f32_e32 v41, 0x3f167918, v43
	v_fmac_f32_e32 v7, 0xbf167918, v43
	s_delay_alu instid0(VALU_DEP_3) | instskip(SKIP_1) | instid1(VALU_DEP_4)
	v_add_f32_e32 v43, v45, v58
	v_dual_add_f32 v45, v46, v50 :: v_dual_fmamk_f32 v50, v47, 0x3f737871, v8
	v_fmac_f32_e32 v41, 0x3e9e377a, v48
	s_delay_alu instid0(VALU_DEP_4)
	v_dual_fmac_f32 v7, 0x3e9e377a, v48 :: v_dual_sub_f32 v48, v58, v77
	v_sub_f32_e32 v58, v69, v75
	v_fmamk_f32 v44, v49, 0xbf737871, v42
	v_fmac_f32_e32 v42, 0x3f737871, v49
	v_dual_add_f32 v46, v43, v77 :: v_dual_sub_f32 v43, v57, v51
	v_dual_fmac_f32 v8, 0xbf737871, v47 :: v_dual_sub_f32 v57, v74, v68
	s_delay_alu instid0(VALU_DEP_3)
	v_fmac_f32_e32 v42, 0x3f167918, v47
	v_fmac_f32_e32 v40, 0x3e9e377a, v53
	;; [unrolled: 1-line block ×3, first 2 shown]
	v_dual_add_f32 v53, v80, v73 :: v_dual_fmac_f32 v44, 0xbf167918, v47
	v_fmac_f32_e32 v50, 0xbf167918, v49
	v_add_f32_e32 v48, v43, v48
	v_add_f32_e32 v47, v52, v80
	s_delay_alu instid0(VALU_DEP_4)
	v_fma_f32 v43, -0.5, v53, v9
	v_sub_f32_e32 v53, v51, v77
	v_dual_fmac_f32 v8, 0x3f167918, v49 :: v_dual_add_f32 v49, v59, v76
	v_dual_sub_f32 v51, v59, v80 :: v_dual_sub_f32 v52, v76, v73
	v_fmac_f32_e32 v44, 0x3e9e377a, v45
	v_fmac_f32_e32 v42, 0x3e9e377a, v45
	;; [unrolled: 1-line block ×3, first 2 shown]
	v_fmamk_f32 v45, v53, 0x3f737871, v43
	v_fmac_f32_e32 v8, 0x3e9e377a, v48
	v_fma_f32 v9, -0.5, v49, v9
	v_dual_add_f32 v48, v51, v52 :: v_dual_fmac_f32 v43, 0xbf737871, v53
	v_dual_sub_f32 v49, v80, v59 :: v_dual_sub_f32 v52, v73, v76
	v_fmac_f32_e32 v45, 0x3f167918, v54
	s_delay_alu instid0(VALU_DEP_4) | instskip(NEXT) | instid1(VALU_DEP_4)
	v_fmamk_f32 v51, v54, 0xbf737871, v9
	v_fmac_f32_e32 v43, 0xbf167918, v54
	v_fmac_f32_e32 v9, 0x3f737871, v54
	v_add_f32_e32 v49, v49, v52
	v_fma_f32 v52, -0.5, v55, v10
	v_sub_f32_e32 v55, v72, v65
	v_fmac_f32_e32 v45, 0x3e9e377a, v48
	v_dual_fmac_f32 v43, 0x3e9e377a, v48 :: v_dual_add_f32 v48, v56, v78
	v_sub_f32_e32 v56, v79, v78
	s_delay_alu instid0(VALU_DEP_4) | instskip(SKIP_1) | instid1(VALU_DEP_4)
	v_fmamk_f32 v54, v55, 0xbf737871, v52
	v_dual_fmac_f32 v52, 0x3f737871, v55 :: v_dual_add_f32 v59, v79, v69
	v_add_f32_e32 v48, v48, v75
	s_delay_alu instid0(VALU_DEP_4) | instskip(NEXT) | instid1(VALU_DEP_4)
	v_add_f32_e32 v60, v56, v58
	v_fmac_f32_e32 v54, 0xbf167918, v57
	s_delay_alu instid0(VALU_DEP_4)
	v_fmac_f32_e32 v52, 0x3f167918, v57
	v_fma_f32 v10, -0.5, v59, v10
	v_add_f32_e32 v56, v48, v69
	v_sub_f32_e32 v48, v78, v79
	v_add_f32_e32 v59, v74, v68
	v_fmac_f32_e32 v52, 0x3e9e377a, v60
	v_fmac_f32_e32 v51, 0x3f167918, v53
	;; [unrolled: 1-line block ×3, first 2 shown]
	v_dual_add_f32 v53, v11, v72 :: v_dual_fmamk_f32 v58, v57, 0x3f737871, v10
	v_fmac_f32_e32 v10, 0xbf737871, v57
	s_delay_alu instid0(VALU_DEP_4) | instskip(NEXT) | instid1(VALU_DEP_4)
	v_fmac_f32_e32 v51, 0x3e9e377a, v49
	v_fmac_f32_e32 v9, 0x3e9e377a, v49
	s_delay_alu instid0(VALU_DEP_4) | instskip(NEXT) | instid1(VALU_DEP_4)
	v_dual_sub_f32 v49, v75, v69 :: v_dual_fmac_f32 v58, 0xbf167918, v55
	v_dual_fmac_f32 v10, 0x3f167918, v55 :: v_dual_add_f32 v57, v72, v65
	v_fmac_f32_e32 v54, 0x3e9e377a, v60
	s_delay_alu instid0(VALU_DEP_3) | instskip(SKIP_2) | instid1(VALU_DEP_3)
	v_dual_add_f32 v48, v48, v49 :: v_dual_add_f32 v49, v53, v74
	v_add_f32_e32 v47, v47, v73
	v_fma_f32 v53, -0.5, v59, v11
	v_dual_sub_f32 v59, v72, v74 :: v_dual_fmac_f32 v58, 0x3e9e377a, v48
	s_delay_alu instid0(VALU_DEP_4) | instskip(NEXT) | instid1(VALU_DEP_4)
	v_add_f32_e32 v49, v49, v68
	v_dual_add_f32 v47, v47, v76 :: v_dual_sub_f32 v60, v78, v75
	s_delay_alu instid0(VALU_DEP_4) | instskip(SKIP_1) | instid1(VALU_DEP_4)
	v_fmamk_f32 v55, v62, 0x3f737871, v53
	v_dual_fmac_f32 v10, 0x3e9e377a, v48 :: v_dual_fmac_f32 v11, -0.5, v57
	v_add_f32_e32 v57, v49, v65
	v_add_f32_e32 v49, v59, v63
	v_dual_fmac_f32 v53, 0xbf737871, v62 :: v_dual_sub_f32 v48, v74, v72
	v_sub_f32_e32 v63, v68, v65
	v_fmac_f32_e32 v55, 0x3f167918, v60
	v_fmamk_f32 v59, v60, 0xbf737871, v11
	s_delay_alu instid0(VALU_DEP_4)
	v_fmac_f32_e32 v53, 0xbf167918, v60
	v_fmac_f32_e32 v11, 0x3f737871, v60
	v_add_f32_e32 v63, v48, v63
	v_add_f32_e32 v60, v0, v30
	v_fma_f32 v48, -0.5, v64, v0
	v_sub_f32_e32 v65, v27, v33
	v_fmac_f32_e32 v55, 0x3e9e377a, v49
	v_fmac_f32_e32 v59, 0x3f167918, v62
	;; [unrolled: 1-line block ×4, first 2 shown]
	v_dual_add_f32 v49, v60, v29 :: v_dual_fmamk_f32 v60, v65, 0xbf737871, v48
	v_sub_f32_e32 v62, v30, v29
	v_sub_f32_e32 v64, v61, v32
	v_fmac_f32_e32 v48, 0x3f737871, v65
	v_fma_f32 v0, -0.5, v67, v0
	v_dual_fmac_f32 v60, 0xbf167918, v66 :: v_dual_add_f32 v49, v49, v32
	s_delay_alu instid0(VALU_DEP_4) | instskip(NEXT) | instid1(VALU_DEP_4)
	v_add_f32_e32 v64, v62, v64
	v_fmac_f32_e32 v48, 0x3f167918, v66
	v_fmac_f32_e32 v59, 0x3e9e377a, v63
	s_delay_alu instid0(VALU_DEP_4) | instskip(NEXT) | instid1(VALU_DEP_4)
	v_dual_fmac_f32 v11, 0x3e9e377a, v63 :: v_dual_add_f32 v62, v49, v61
	v_fmac_f32_e32 v60, 0x3e9e377a, v64
	s_delay_alu instid0(VALU_DEP_4)
	v_fmac_f32_e32 v48, 0x3e9e377a, v64
	v_fmamk_f32 v64, v66, 0x3f737871, v0
	v_fmac_f32_e32 v0, 0xbf737871, v66
	v_add_f32_e32 v66, v1, v27
	v_add_f32_e32 v49, v28, v31
	v_sub_f32_e32 v63, v29, v30
	v_sub_f32_e32 v67, v32, v61
	v_fmac_f32_e32 v64, 0xbf167918, v65
	v_dual_fmac_f32 v0, 0x3f167918, v65 :: v_dual_add_f32 v65, v66, v28
	v_add_f32_e32 v66, v27, v33
	v_fma_f32 v49, -0.5, v49, v1
	v_add_f32_e32 v63, v63, v67
	v_dual_sub_f32 v29, v29, v32 :: v_dual_sub_f32 v30, v30, v61
	s_delay_alu instid0(VALU_DEP_4) | instskip(NEXT) | instid1(VALU_DEP_3)
	v_dual_fmac_f32 v1, -0.5, v66 :: v_dual_sub_f32 v66, v33, v31
	v_fmac_f32_e32 v64, 0x3e9e377a, v63
	v_fmac_f32_e32 v0, 0x3e9e377a, v63
	v_dual_add_f32 v32, v65, v31 :: v_dual_sub_f32 v63, v27, v28
	s_delay_alu instid0(VALU_DEP_4) | instskip(SKIP_3) | instid1(VALU_DEP_4)
	v_fmamk_f32 v65, v29, 0xbf737871, v1
	v_dual_sub_f32 v27, v28, v27 :: v_dual_sub_f32 v28, v31, v33
	v_fmac_f32_e32 v1, 0x3f737871, v29
	v_fmamk_f32 v61, v30, 0x3f737871, v49
	v_fmac_f32_e32 v65, 0x3f167918, v30
	v_fmac_f32_e32 v49, 0xbf737871, v30
	v_add_f32_e32 v27, v27, v28
	v_fmac_f32_e32 v1, 0xbf167918, v30
	v_fmac_f32_e32 v61, 0x3f167918, v29
	v_add_f32_e32 v31, v63, v66
	v_fmac_f32_e32 v49, 0xbf167918, v29
	v_fmac_f32_e32 v65, 0x3e9e377a, v27
	;; [unrolled: 1-line block ×3, first 2 shown]
	scratch_load_b32 v27, off, off offset:180 th:TH_LOAD_LU ; 4-byte Folded Reload
	v_add_f32_e32 v63, v32, v33
	v_fmac_f32_e32 v61, 0x3e9e377a, v31
	v_fmac_f32_e32 v49, 0x3e9e377a, v31
	s_wait_loadcnt 0x0
	ds_store_2addr_b64 v27, v[16:17], v[12:13] offset1:30
	ds_store_2addr_b64 v27, v[14:15], v[4:5] offset0:60 offset1:90
	ds_store_b64 v27, v[2:3] offset:960
	scratch_load_b32 v2, off, off offset:184 th:TH_LOAD_LU ; 4-byte Folded Reload
	s_wait_loadcnt 0x0
	ds_store_2addr_b64 v2, v[38:39], v[36:37] offset1:30
	ds_store_2addr_b64 v2, v[40:41], v[6:7] offset0:60 offset1:90
	ds_store_b64 v2, v[34:35] offset:960
	scratch_load_b32 v2, off, off offset:188 th:TH_LOAD_LU ; 4-byte Folded Reload
	;; [unrolled: 5-line block ×4, first 2 shown]
	s_wait_loadcnt 0x0
	ds_store_2addr_b64 v2, v[62:63], v[60:61] offset1:30
	ds_store_2addr_b64 v2, v[64:65], v[0:1] offset0:60 offset1:90
	ds_store_b64 v2, v[48:49] offset:960
	v_add_nc_u32_e32 v0, 0x2c00, v255
	global_wb scope:SCOPE_SE
	s_wait_dscnt 0x0
	s_barrier_signal -1
	s_barrier_wait -1
	global_inv scope:SCOPE_SE
	ds_load_2addr_b64 v[12:15], v255 offset1:90
	ds_load_2addr_b64 v[44:47], v26 offset0:110 offset1:200
	ds_load_2addr_b64 v[40:43], v0 offset0:92 offset1:182
	;; [unrolled: 1-line block ×11, first 2 shown]
	s_and_saveexec_b32 s1, s0
	s_cbranch_execz .LBB0_27
; %bb.26:
	ds_load_b64 v[48:49], v255 offset:5760
	ds_load_b64 v[162:163], v255 offset:11760
	ds_load_b64 v[160:161], v255 offset:17760
.LBB0_27:
	s_wait_alu 0xfffe
	s_or_b32 exec_lo, exec_lo, s1
	s_wait_dscnt 0x9
	v_dual_mul_f32 v50, v105, v45 :: v_dual_mul_f32 v53, v107, v40
	v_dual_mul_f32 v51, v105, v44 :: v_dual_mul_f32 v52, v107, v41
	global_wb scope:SCOPE_SE
	s_wait_dscnt 0x0
	v_fmac_f32_e32 v50, v104, v44
	v_fma_f32 v41, v106, v41, -v53
	v_fma_f32 v44, v104, v45, -v51
	v_dual_mul_f32 v45, v117, v47 :: v_dual_fmac_f32 v52, v106, v40
	v_dual_mul_f32 v51, v119, v43 :: v_dual_mul_f32 v40, v117, v46
	s_delay_alu instid0(VALU_DEP_2) | instskip(SKIP_1) | instid1(VALU_DEP_3)
	v_dual_mul_f32 v62, v115, v19 :: v_dual_fmac_f32 v45, v116, v46
	v_mul_f32_e32 v46, v119, v42
	v_fmac_f32_e32 v51, v118, v42
	s_delay_alu instid0(VALU_DEP_4)
	v_fma_f32 v40, v116, v47, -v40
	v_mul_f32_e32 v47, v97, v37
	v_mul_f32_e32 v42, v97, v36
	v_fma_f32 v43, v118, v43, -v46
	v_mul_f32_e32 v46, v99, v33
	v_mul_f32_e32 v55, v127, v27
	v_fmac_f32_e32 v47, v96, v36
	v_mul_f32_e32 v36, v99, v32
	v_fma_f32 v37, v96, v37, -v42
	v_dual_fmac_f32 v46, v98, v32 :: v_dual_mul_f32 v53, v125, v31
	v_mul_f32_e32 v32, v93, v38
	v_mul_f32_e32 v42, v93, v39
	s_barrier_signal -1
	v_mul_f32_e32 v57, v121, v21
	v_fmac_f32_e32 v53, v124, v30
	v_fma_f32 v32, v92, v39, -v32
	v_mul_f32_e32 v39, v129, v29
	v_fma_f32 v33, v98, v33, -v36
	v_dual_mul_f32 v36, v95, v35 :: v_dual_fmac_f32 v57, v120, v20
	v_fmac_f32_e32 v55, v126, v26
	s_delay_alu instid0(VALU_DEP_4)
	v_fmac_f32_e32 v39, v128, v28
	v_fmac_f32_e32 v42, v92, v38
	v_mul_f32_e32 v38, v95, v34
	v_dual_fmac_f32 v36, v94, v34 :: v_dual_mul_f32 v59, v123, v17
	v_mul_f32_e32 v34, v129, v28
	v_dual_mul_f32 v28, v131, v24 :: v_dual_mul_f32 v61, v113, v23
	s_delay_alu instid0(VALU_DEP_4) | instskip(NEXT) | instid1(VALU_DEP_4)
	v_fma_f32 v35, v94, v35, -v38
	v_dual_mul_f32 v38, v131, v25 :: v_dual_fmac_f32 v59, v122, v16
	s_delay_alu instid0(VALU_DEP_3) | instskip(NEXT) | instid1(VALU_DEP_4)
	v_fma_f32 v54, v130, v25, -v28
	v_fmac_f32_e32 v61, v112, v22
	s_delay_alu instid0(VALU_DEP_3)
	v_dual_mul_f32 v25, v127, v26 :: v_dual_fmac_f32 v38, v130, v24
	v_mul_f32_e32 v24, v125, v30
	s_barrier_wait -1
	global_inv scope:SCOPE_SE
	v_fma_f32 v58, v126, v27, -v25
	v_sub_f32_e32 v28, v37, v33
	v_fma_f32 v56, v124, v31, -v24
	v_mul_f32_e32 v24, v121, v20
	v_mul_f32_e32 v20, v123, v16
	;; [unrolled: 1-line block ×3, first 2 shown]
	v_fma_f32 v34, v128, v29, -v34
	v_dual_add_f32 v29, v9, v37 :: v_dual_sub_f32 v30, v47, v46
	s_delay_alu instid0(VALU_DEP_4) | instskip(SKIP_4) | instid1(VALU_DEP_4)
	v_fma_f32 v20, v122, v17, -v20
	v_mul_f32_e32 v17, v115, v18
	v_fma_f32 v60, v120, v21, -v24
	v_dual_add_f32 v21, v13, v44 :: v_dual_fmac_f32 v62, v114, v18
	v_add_f32_e32 v25, v15, v40
	v_fma_f32 v64, v114, v19, -v17
	v_add_f32_e32 v17, v44, v41
	v_sub_f32_e32 v19, v44, v41
	v_fma_f32 v63, v112, v23, -v16
	v_add_f32_e32 v16, v50, v52
	v_add_f32_e32 v23, v14, v45
	v_fma_f32 v13, -0.5, v17, v13
	v_add_f32_e32 v17, v21, v41
	v_dual_add_f32 v21, v45, v51 :: v_dual_sub_f32 v22, v50, v52
	v_sub_f32_e32 v24, v40, v43
	v_add_f32_e32 v27, v8, v47
	v_add_f32_e32 v31, v10, v42
	s_delay_alu instid0(VALU_DEP_4) | instskip(SKIP_3) | instid1(VALU_DEP_3)
	v_fma_f32 v14, -0.5, v21, v14
	v_dual_add_f32 v21, v23, v51 :: v_dual_add_f32 v18, v12, v50
	v_fma_f32 v12, -0.5, v16, v12
	v_add_f32_e32 v41, v3, v56
	v_add_f32_e32 v16, v18, v52
	s_delay_alu instid0(VALU_DEP_3) | instskip(SKIP_4) | instid1(VALU_DEP_3)
	v_fmamk_f32 v18, v19, 0xbf5db3d7, v12
	v_dual_fmac_f32 v12, 0x3f5db3d7, v19 :: v_dual_fmamk_f32 v19, v22, 0x3f5db3d7, v13
	v_dual_fmac_f32 v13, 0xbf5db3d7, v22 :: v_dual_add_f32 v22, v40, v43
	v_sub_f32_e32 v40, v56, v58
	v_sub_f32_e32 v52, v61, v62
	v_fmac_f32_e32 v15, -0.5, v22
	ds_store_2addr_b64 v255, v[16:17], v[18:19] offset1:150
	ds_store_b64 v255, v[12:13] offset:2400
	scratch_load_b32 v12, off, off offset:200 th:TH_LOAD_LU ; 4-byte Folded Reload
	v_dual_add_f32 v22, v25, v43 :: v_dual_add_f32 v25, v47, v46
	v_dual_sub_f32 v26, v45, v51 :: v_dual_fmamk_f32 v23, v24, 0xbf5db3d7, v14
	v_dual_fmac_f32 v14, 0x3f5db3d7, v24 :: v_dual_add_f32 v43, v4, v57
	s_delay_alu instid0(VALU_DEP_3) | instskip(NEXT) | instid1(VALU_DEP_3)
	v_fma_f32 v8, -0.5, v25, v8
	v_dual_fmamk_f32 v24, v26, 0x3f5db3d7, v15 :: v_dual_add_f32 v25, v27, v46
	v_dual_fmac_f32 v15, 0xbf5db3d7, v26 :: v_dual_add_f32 v26, v37, v33
	s_delay_alu instid0(VALU_DEP_3) | instskip(SKIP_2) | instid1(VALU_DEP_4)
	v_fmamk_f32 v27, v28, 0xbf5db3d7, v8
	v_dual_sub_f32 v37, v34, v54 :: v_dual_sub_f32 v46, v57, v59
	v_add_f32_e32 v45, v5, v60
	v_fma_f32 v9, -0.5, v26, v9
	v_dual_add_f32 v26, v29, v33 :: v_dual_add_f32 v29, v42, v36
	v_dual_fmac_f32 v8, 0x3f5db3d7, v28 :: v_dual_sub_f32 v33, v32, v35
	s_delay_alu instid0(VALU_DEP_3) | instskip(SKIP_1) | instid1(VALU_DEP_4)
	v_fmamk_f32 v28, v30, 0x3f5db3d7, v9
	v_dual_fmac_f32 v9, 0xbf5db3d7, v30 :: v_dual_add_f32 v30, v32, v35
	v_fma_f32 v10, -0.5, v29, v10
	v_add_f32_e32 v29, v31, v36
	v_add_f32_e32 v32, v11, v32
	s_delay_alu instid0(VALU_DEP_4) | instskip(NEXT) | instid1(VALU_DEP_4)
	v_dual_sub_f32 v36, v42, v36 :: v_dual_fmac_f32 v11, -0.5, v30
	v_fmamk_f32 v31, v33, 0xbf5db3d7, v10
	v_dual_fmac_f32 v10, 0x3f5db3d7, v33 :: v_dual_add_f32 v33, v39, v38
	s_delay_alu instid0(VALU_DEP_4) | instskip(NEXT) | instid1(VALU_DEP_4)
	v_add_f32_e32 v30, v32, v35
	v_fmamk_f32 v32, v36, 0x3f5db3d7, v11
	v_add_f32_e32 v35, v0, v39
	v_dual_fmac_f32 v11, 0xbf5db3d7, v36 :: v_dual_add_f32 v36, v34, v54
	v_fma_f32 v0, -0.5, v33, v0
	v_add_f32_e32 v34, v1, v34
	s_delay_alu instid0(VALU_DEP_4)
	v_add_f32_e32 v33, v35, v38
	v_sub_f32_e32 v38, v39, v38
	v_fma_f32 v1, -0.5, v36, v1
	v_fmamk_f32 v35, v37, 0xbf5db3d7, v0
	v_dual_fmac_f32 v0, 0x3f5db3d7, v37 :: v_dual_add_f32 v37, v53, v55
	v_add_f32_e32 v39, v2, v53
	v_add_f32_e32 v34, v34, v54
	v_fmamk_f32 v36, v38, 0x3f5db3d7, v1
	v_dual_fmac_f32 v1, 0xbf5db3d7, v38 :: v_dual_sub_f32 v42, v53, v55
	v_add_f32_e32 v38, v56, v58
	v_fma_f32 v2, -0.5, v37, v2
	v_add_f32_e32 v37, v39, v55
	v_add_f32_e32 v47, v7, v63
	s_delay_alu instid0(VALU_DEP_4)
	v_fmac_f32_e32 v3, -0.5, v38
	v_add_f32_e32 v38, v41, v58
	v_add_f32_e32 v41, v57, v59
	v_fmamk_f32 v39, v40, 0xbf5db3d7, v2
	v_fmac_f32_e32 v2, 0x3f5db3d7, v40
	v_fmamk_f32 v40, v42, 0x3f5db3d7, v3
	v_dual_fmac_f32 v3, 0xbf5db3d7, v42 :: v_dual_add_f32 v42, v60, v20
	v_fma_f32 v4, -0.5, v41, v4
	v_add_f32_e32 v41, v43, v59
	s_delay_alu instid0(VALU_DEP_3) | instskip(SKIP_1) | instid1(VALU_DEP_1)
	v_fma_f32 v5, -0.5, v42, v5
	v_sub_f32_e32 v44, v60, v20
	v_fmamk_f32 v43, v44, 0xbf5db3d7, v4
	v_fmac_f32_e32 v4, 0x3f5db3d7, v44
	s_delay_alu instid0(VALU_DEP_4) | instskip(SKIP_3) | instid1(VALU_DEP_2)
	v_fmamk_f32 v44, v46, 0x3f5db3d7, v5
	v_add_f32_e32 v42, v45, v20
	v_dual_add_f32 v20, v61, v62 :: v_dual_add_f32 v45, v63, v64
	v_fmac_f32_e32 v5, 0xbf5db3d7, v46
	v_fmac_f32_e32 v7, -0.5, v45
	v_add_f32_e32 v46, v6, v61
	s_delay_alu instid0(VALU_DEP_4) | instskip(NEXT) | instid1(VALU_DEP_3)
	v_fma_f32 v6, -0.5, v20, v6
	v_dual_fmamk_f32 v51, v52, 0x3f5db3d7, v7 :: v_dual_sub_f32 v20, v63, v64
	s_delay_alu instid0(VALU_DEP_3) | instskip(NEXT) | instid1(VALU_DEP_2)
	v_add_f32_e32 v45, v46, v62
	v_dual_fmac_f32 v7, 0xbf5db3d7, v52 :: v_dual_fmamk_f32 v50, v20, 0xbf5db3d7, v6
	v_fmac_f32_e32 v6, 0x3f5db3d7, v20
	v_add_nc_u32_e32 v20, 0xc00, v255
	s_wait_loadcnt 0x0
	ds_store_2addr_b64 v12, v[21:22], v[23:24] offset1:150
	ds_store_b64 v12, v[14:15] offset:2400
	ds_store_2addr_b64 v20, v[25:26], v[27:28] offset0:96 offset1:246
	s_clause 0x1
	scratch_load_b32 v14, off, off offset:208 th:TH_LOAD_LU
	scratch_load_b32 v15, off, off offset:212 th:TH_LOAD_LU
	ds_store_b64 v255, v[8:9] offset:6240
	scratch_load_b32 v8, off, off offset:204 th:TH_LOAD_LU ; 4-byte Folded Reload
	v_add_f32_e32 v46, v47, v64
	s_wait_loadcnt 0x2
	v_add_nc_u32_e32 v12, 0x1c00, v14
	s_wait_loadcnt 0x1
	v_add_nc_u32_e32 v13, 0x2800, v15
	s_wait_loadcnt 0x0
	ds_store_2addr_b64 v8, v[29:30], v[31:32] offset1:150
	ds_store_b64 v8, v[10:11] offset:2400
	ds_store_2addr_b64 v12, v[33:34], v[35:36] offset0:4 offset1:154
	ds_store_2addr_b64 v13, v[37:38], v[39:40] offset0:70 offset1:220
	scratch_load_b32 v9, off, off offset:224 th:TH_LOAD_LU ; 4-byte Folded Reload
	ds_store_b64 v14, v[0:1] offset:9600
	ds_store_b64 v15, v[2:3] offset:13200
	scratch_load_b32 v0, off, off offset:216 th:TH_LOAD_LU ; 4-byte Folded Reload
	s_wait_loadcnt 0x1
	v_add_nc_u32_e32 v8, 0x3800, v9
	s_wait_loadcnt 0x0
	ds_store_2addr_b64 v0, v[41:42], v[43:44] offset1:150
	ds_store_b64 v0, v[4:5] offset:2400
	ds_store_2addr_b64 v8, v[45:46], v[50:51] offset0:8 offset1:158
	ds_store_b64 v9, v[6:7] offset:16800
	s_and_saveexec_b32 s1, s0
	s_cbranch_execz .LBB0_29
; %bb.28:
	scratch_load_b32 v4, off, off offset:220 th:TH_LOAD_LU ; 4-byte Folded Reload
	v_dual_mul_f32 v0, v85, v162 :: v_dual_mul_f32 v1, v87, v160
	v_mul_f32_e32 v2, v85, v163
	s_delay_alu instid0(VALU_DEP_2) | instskip(NEXT) | instid1(VALU_DEP_3)
	v_fma_f32 v0, v84, v163, -v0
	v_fma_f32 v3, v86, v161, -v1
	s_delay_alu instid0(VALU_DEP_2) | instskip(NEXT) | instid1(VALU_DEP_1)
	v_dual_mul_f32 v6, v87, v161 :: v_dual_add_f32 v5, v49, v0
	v_dual_add_f32 v1, v0, v3 :: v_dual_fmac_f32 v6, v86, v160
	v_sub_f32_e32 v9, v0, v3
	s_delay_alu instid0(VALU_DEP_3) | instskip(NEXT) | instid1(VALU_DEP_3)
	v_add_f32_e32 v3, v5, v3
	v_fma_f32 v1, -0.5, v1, v49
	s_wait_loadcnt 0x0
	v_dual_fmac_f32 v2, v84, v162 :: v_dual_lshlrev_b32 v7, 3, v4
	s_delay_alu instid0(VALU_DEP_1) | instskip(SKIP_2) | instid1(VALU_DEP_3)
	v_add_f32_e32 v4, v2, v6
	v_sub_f32_e32 v8, v2, v6
	v_add_f32_e32 v2, v48, v2
	v_fma_f32 v0, -0.5, v4, v48
	s_delay_alu instid0(VALU_DEP_3) | instskip(NEXT) | instid1(VALU_DEP_3)
	v_fmamk_f32 v5, v8, 0xbf5db3d7, v1
	v_dual_fmac_f32 v1, 0x3f5db3d7, v8 :: v_dual_add_f32 v2, v2, v6
	v_add_nc_u32_e32 v6, 0x3800, v7
	s_delay_alu instid0(VALU_DEP_4)
	v_fmamk_f32 v4, v9, 0x3f5db3d7, v0
	v_fmac_f32_e32 v0, 0xbf5db3d7, v9
	ds_store_2addr_b64 v6, v[2:3], v[0:1] offset0:8 offset1:158
	ds_store_b64 v7, v[4:5] offset:16800
.LBB0_29:
	s_wait_alu 0xfffe
	s_or_b32 exec_lo, exec_lo, s1
	v_add_nc_u32_e32 v0, 0x800, v255
	global_wb scope:SCOPE_SE
	s_wait_dscnt 0x0
	s_barrier_signal -1
	s_barrier_wait -1
	global_inv scope:SCOPE_SE
	ds_load_2addr_b64 v[0:3], v0 offset0:104 offset1:194
	v_add_nc_u32_e32 v8, 0x2400, v255
	v_add_nc_u32_e32 v22, 0x2800, v255
	;; [unrolled: 1-line block ×3, first 2 shown]
	ds_load_2addr_b64 v[4:7], v255 offset1:90
	v_add_nc_u32_e32 v24, 0x2000, v255
	ds_load_2addr_b64 v[32:35], v8 offset0:108 offset1:198
	v_add_nc_u32_e32 v27, 0x1400, v255
	s_mov_b32 s2, 0x5a912e32
	s_mov_b32 s3, 0x3f3d208a
	s_wait_dscnt 0x2
	v_mul_f32_e32 v60, v109, v3
	v_add_nc_u32_e32 v23, 0x1800, v255
	v_mul_f32_e32 v61, v109, v2
	s_delay_alu instid0(VALU_DEP_3)
	v_fmac_f32_e32 v60, v108, v2
	ds_load_2addr_b64 v[12:15], v23 offset0:132 offset1:222
	v_add_nc_u32_e32 v19, 0x3800, v255
	s_wait_dscnt 0x1
	v_dual_mul_f32 v64, v101, v34 :: v_dual_add_nc_u32 v25, 0x1000, v255
	v_fma_f32 v61, v108, v3, -v61
	s_wait_dscnt 0x0
	v_mul_f32_e32 v2, v111, v12
	v_mul_f32_e32 v62, v111, v13
	ds_load_b64 v[16:17], v255 offset:17280
	ds_load_2addr_b64 v[28:31], v19 offset0:8 offset1:98
	ds_load_2addr_b64 v[36:39], v25 offset0:28 offset1:118
	;; [unrolled: 1-line block ×5, first 2 shown]
	v_add_nc_u32_e32 v18, 0x3c00, v255
	v_add_nc_u32_e32 v21, 0x3000, v255
	v_dual_mul_f32 v63, v101, v35 :: v_dual_fmac_f32 v62, v110, v12
	v_fma_f32 v65, v110, v13, -v2
	v_fma_f32 v35, v100, v35, -v64
	v_mul_f32_e32 v66, v91, v15
	s_wait_dscnt 0x4
	v_mul_f32_e32 v2, v103, v28
	s_wait_dscnt 0x3
	;; [unrolled: 2-line block ×3, first 2 shown]
	v_mul_f32_e32 v69, v133, v41
	ds_load_2addr_b64 v[48:51], v18 offset0:60 offset1:150
	ds_load_2addr_b64 v[52:55], v27 offset0:80 offset1:170
	;; [unrolled: 1-line block ×3, first 2 shown]
	v_mul_f32_e32 v64, v89, v37
	v_mul_f32_e32 v13, v103, v29
	v_fma_f32 v68, v88, v37, -v3
	v_mul_f32_e32 v3, v133, v40
	v_fma_f32 v67, v102, v29, -v2
	s_wait_dscnt 0x3
	v_mul_f32_e32 v75, v143, v45
	v_mul_f32_e32 v2, v91, v14
	v_fmac_f32_e32 v63, v100, v34
	v_fma_f32 v72, v132, v41, -v3
	v_mul_f32_e32 v3, v143, v44
	v_fmac_f32_e32 v75, v142, v44
	v_fmac_f32_e32 v64, v88, v36
	;; [unrolled: 1-line block ×4, first 2 shown]
	v_mul_f32_e32 v12, v135, v30
	v_fma_f32 v71, v90, v15, -v2
	v_mul_f32_e32 v90, v155, v17
	s_wait_dscnt 0x2
	v_mul_f32_e32 v79, v139, v49
	s_wait_dscnt 0x0
	v_dual_mul_f32 v70, v135, v31 :: v_dual_mul_f32 v85, v149, v57
	v_fma_f32 v73, v134, v31, -v12
	v_mul_f32_e32 v74, v141, v39
	v_mul_f32_e32 v12, v145, v52
	v_fmac_f32_e32 v90, v154, v16
	v_sub_f32_e32 v14, v60, v62
	v_sub_f32_e32 v34, v13, v63
	v_mul_f32_e32 v16, v155, v16
	v_dual_mul_f32 v2, v141, v38 :: v_dual_add_f32 v37, v60, v13
	v_fma_f32 v78, v142, v45, -v3
	v_mul_f32_e32 v3, v139, v48
	v_fmac_f32_e32 v79, v138, v48
	v_dual_fmac_f32 v70, v134, v30 :: v_dual_fmac_f32 v85, v148, v56
	v_dual_fmac_f32 v74, v140, v38 :: v_dual_mul_f32 v31, v157, v55
	v_mul_f32_e32 v30, v159, v33
	v_mul_f32_e32 v76, v137, v43
	v_add_f32_e32 v38, v14, v34
	v_fma_f32 v34, v154, v17, -v16
	v_sub_f32_e32 v17, v63, v13
	v_fma_f32 v83, v144, v53, -v12
	v_mul_f32_e32 v12, v159, v32
	v_fma_f32 v82, v138, v49, -v3
	v_mul_f32_e32 v3, v149, v56
	v_fmac_f32_e32 v31, v156, v54
	v_fmac_f32_e32 v76, v136, v42
	v_fma_f32 v29, v158, v33, -v12
	v_mul_f32_e32 v33, v153, v59
	v_mul_f32_e32 v80, v145, v53
	v_fma_f32 v88, v148, v57, -v3
	v_dual_mul_f32 v3, v157, v54 :: v_dual_mul_f32 v84, v147, v47
	s_delay_alu instid0(VALU_DEP_4) | instskip(NEXT) | instid1(VALU_DEP_4)
	v_fmac_f32_e32 v33, v152, v58
	v_fmac_f32_e32 v80, v144, v52
	v_add_f32_e32 v12, v4, v60
	s_delay_alu instid0(VALU_DEP_4) | instskip(SKIP_4) | instid1(VALU_DEP_4)
	v_fma_f32 v28, v156, v55, -v3
	v_mul_f32_e32 v3, v153, v58
	v_fma_f32 v77, v140, v39, -v2
	v_mul_f32_e32 v86, v151, v51
	v_dual_fmac_f32 v30, v158, v32 :: v_dual_sub_f32 v15, v61, v67
	v_fma_f32 v32, v152, v59, -v3
	v_add_f32_e32 v3, v12, v62
	v_mul_f32_e32 v2, v137, v42
	v_dual_fmac_f32 v86, v150, v50 :: v_dual_add_f32 v39, v65, v35
	v_fma_f32 v14, -0.5, v37, v4
	s_delay_alu instid0(VALU_DEP_4) | instskip(NEXT) | instid1(VALU_DEP_4)
	v_add_f32_e32 v3, v3, v63
	v_fma_f32 v81, v136, v43, -v2
	v_dual_mul_f32 v2, v147, v46 :: v_dual_fmac_f32 v69, v132, v40
	v_dual_fmac_f32 v84, v146, v46 :: v_dual_add_f32 v37, v5, v61
	v_sub_f32_e32 v42, v71, v72
	s_delay_alu instid0(VALU_DEP_3) | instskip(NEXT) | instid1(VALU_DEP_4)
	v_fma_f32 v87, v146, v47, -v2
	v_dual_mul_f32 v2, v151, v50 :: v_dual_sub_f32 v43, v70, v69
	v_dual_sub_f32 v40, v67, v35 :: v_dual_add_f32 v41, v6, v64
	v_dual_add_f32 v44, v64, v70 :: v_dual_sub_f32 v47, v73, v72
	s_delay_alu instid0(VALU_DEP_3)
	v_fma_f32 v89, v150, v51, -v2
	v_add_f32_e32 v2, v62, v63
	v_sub_f32_e32 v50, v78, v81
	v_sub_f32_e32 v54, v77, v78
	;; [unrolled: 1-line block ×3, first 2 shown]
	v_add_f32_e32 v56, v84, v85
	v_fma_f32 v2, -0.5, v2, v4
	v_dual_add_f32 v4, v3, v13 :: v_dual_sub_f32 v3, v62, v60
	v_add_f32_e32 v45, v71, v72
	v_add_f32_e32 v49, v8, v74
	v_sub_f32_e32 v51, v79, v76
	v_add_f32_e32 v53, v78, v81
	v_add_f32_e32 v17, v3, v17
	v_fma_f32 v3, -0.5, v39, v5
	v_dual_sub_f32 v39, v60, v13 :: v_dual_fmamk_f32 v12, v15, 0xbf737871, v2
	v_fmac_f32_e32 v2, 0x3f737871, v15
	v_dual_add_f32 v60, v80, v86 :: v_dual_sub_f32 v55, v82, v81
	s_delay_alu instid0(VALU_DEP_3) | instskip(SKIP_2) | instid1(VALU_DEP_3)
	v_dual_fmamk_f32 v13, v39, 0x3f737871, v3 :: v_dual_sub_f32 v36, v65, v35
	v_fmac_f32_e32 v3, 0xbf737871, v39
	v_add_f32_e32 v57, v10, v80
	v_dual_sub_f32 v59, v86, v85 :: v_dual_fmamk_f32 v16, v36, 0x3f737871, v14
	v_fmac_f32_e32 v14, 0xbf737871, v36
	v_fmac_f32_e32 v12, 0xbf167918, v36
	;; [unrolled: 1-line block ×3, first 2 shown]
	v_add_f32_e32 v36, v37, v65
	v_fmac_f32_e32 v16, 0xbf167918, v15
	v_fmac_f32_e32 v14, 0x3f167918, v15
	v_add_f32_e32 v15, v61, v67
	v_sub_f32_e32 v37, v62, v63
	v_add_f32_e32 v36, v36, v35
	v_fmac_f32_e32 v16, 0x3e9e377a, v17
	v_fmac_f32_e32 v14, 0x3e9e377a, v17
	v_fma_f32 v15, -0.5, v15, v5
	v_sub_f32_e32 v35, v35, v67
	v_fmac_f32_e32 v3, 0xbf167918, v37
	v_add_f32_e32 v5, v36, v67
	v_fmac_f32_e32 v13, 0x3f167918, v37
	v_fmamk_f32 v17, v37, 0xbf737871, v15
	v_dual_fmac_f32 v15, 0x3f737871, v37 :: v_dual_sub_f32 v62, v83, v87
	v_sub_f32_e32 v63, v89, v88
	v_add_f32_e32 v67, v31, v90
	s_delay_alu instid0(VALU_DEP_4) | instskip(SKIP_4) | instid1(VALU_DEP_2)
	v_fmac_f32_e32 v17, 0x3f167918, v39
	v_fmac_f32_e32 v12, 0x3e9e377a, v38
	;; [unrolled: 1-line block ×3, first 2 shown]
	v_dual_sub_f32 v38, v61, v65 :: v_dual_fmac_f32 v15, 0xbf167918, v39
	v_dual_add_f32 v62, v62, v63 :: v_dual_sub_f32 v63, v88, v89
	v_add_f32_e32 v36, v38, v40
	v_sub_f32_e32 v38, v65, v61
	v_dual_add_f32 v40, v66, v69 :: v_dual_add_f32 v61, v87, v88
	v_dual_add_f32 v54, v54, v55 :: v_dual_sub_f32 v55, v81, v82
	s_delay_alu instid0(VALU_DEP_3) | instskip(NEXT) | instid1(VALU_DEP_3)
	v_add_f32_e32 v38, v38, v35
	v_fma_f32 v35, -0.5, v40, v6
	v_sub_f32_e32 v40, v68, v73
	v_fma_f32 v6, -0.5, v44, v6
	v_add_f32_e32 v44, v7, v68
	v_sub_f32_e32 v65, v31, v30
	s_delay_alu instid0(VALU_DEP_4) | instskip(SKIP_1) | instid1(VALU_DEP_2)
	v_fmamk_f32 v37, v40, 0xbf737871, v35
	v_fmac_f32_e32 v35, 0x3f737871, v40
	v_fmac_f32_e32 v37, 0xbf167918, v42
	s_delay_alu instid0(VALU_DEP_2) | instskip(SKIP_3) | instid1(VALU_DEP_1)
	v_fmac_f32_e32 v35, 0x3f167918, v42
	v_fmac_f32_e32 v13, 0x3e9e377a, v36
	v_dual_fmac_f32 v3, 0x3e9e377a, v36 :: v_dual_add_f32 v36, v41, v66
	v_sub_f32_e32 v41, v64, v66
	v_add_f32_e32 v43, v41, v43
	s_delay_alu instid0(VALU_DEP_1)
	v_fmac_f32_e32 v37, 0x3e9e377a, v43
	v_fmac_f32_e32 v35, 0x3e9e377a, v43
	v_sub_f32_e32 v43, v68, v71
	v_fmamk_f32 v41, v42, 0x3f737871, v6
	v_fmac_f32_e32 v6, 0xbf737871, v42
	v_add_f32_e32 v42, v68, v73
	s_delay_alu instid0(VALU_DEP_3) | instskip(SKIP_2) | instid1(VALU_DEP_3)
	v_dual_add_f32 v36, v36, v69 :: v_dual_fmac_f32 v41, 0xbf167918, v40
	v_fmac_f32_e32 v17, 0x3e9e377a, v38
	v_fmac_f32_e32 v15, 0x3e9e377a, v38
	v_dual_add_f32 v39, v36, v70 :: v_dual_sub_f32 v36, v66, v64
	v_sub_f32_e32 v38, v69, v70
	s_delay_alu instid0(VALU_DEP_1)
	v_add_f32_e32 v46, v36, v38
	v_fma_f32 v36, -0.5, v45, v7
	v_sub_f32_e32 v45, v66, v69
	v_dual_fmac_f32 v7, -0.5, v42 :: v_dual_add_f32 v38, v44, v71
	v_sub_f32_e32 v44, v64, v70
	v_fmac_f32_e32 v41, 0x3e9e377a, v46
	v_fmac_f32_e32 v6, 0x3f167918, v40
	s_delay_alu instid0(VALU_DEP_4)
	v_fmamk_f32 v42, v45, 0xbf737871, v7
	v_dual_fmac_f32 v7, 0x3f737871, v45 :: v_dual_add_f32 v40, v38, v72
	v_fmamk_f32 v38, v44, 0x3f737871, v36
	v_fmac_f32_e32 v36, 0xbf737871, v44
	v_fmac_f32_e32 v6, 0x3e9e377a, v46
	v_add_f32_e32 v46, v43, v47
	s_delay_alu instid0(VALU_DEP_4) | instskip(NEXT) | instid1(VALU_DEP_4)
	v_dual_sub_f32 v43, v71, v68 :: v_dual_fmac_f32 v38, 0x3f167918, v45
	v_fmac_f32_e32 v36, 0xbf167918, v45
	v_sub_f32_e32 v47, v72, v73
	v_sub_f32_e32 v66, v90, v33
	v_add_f32_e32 v64, v30, v33
	v_fmac_f32_e32 v38, 0x3e9e377a, v46
	v_fmac_f32_e32 v36, 0x3e9e377a, v46
	v_add_f32_e32 v46, v49, v75
	v_dual_sub_f32 v49, v74, v75 :: v_dual_fmac_f32 v42, 0x3f167918, v44
	v_fmac_f32_e32 v7, 0xbf167918, v44
	s_delay_alu instid0(VALU_DEP_3) | instskip(NEXT) | instid1(VALU_DEP_3)
	v_dual_add_f32 v47, v43, v47 :: v_dual_add_f32 v44, v46, v76
	v_add_f32_e32 v46, v49, v51
	v_dual_add_f32 v48, v75, v76 :: v_dual_sub_f32 v51, v76, v79
	s_delay_alu instid0(VALU_DEP_3) | instskip(SKIP_1) | instid1(VALU_DEP_3)
	v_fmac_f32_e32 v7, 0x3e9e377a, v47
	v_dual_add_f32 v65, v65, v66 :: v_dual_sub_f32 v66, v30, v31
	v_fma_f32 v43, -0.5, v48, v8
	v_sub_f32_e32 v48, v77, v82
	s_delay_alu instid0(VALU_DEP_1) | instskip(SKIP_1) | instid1(VALU_DEP_2)
	v_fmamk_f32 v45, v48, 0xbf737871, v43
	v_fmac_f32_e32 v43, 0x3f737871, v48
	v_dual_fmac_f32 v45, 0xbf167918, v50 :: v_dual_add_f32 v40, v40, v73
	s_delay_alu instid0(VALU_DEP_2) | instskip(SKIP_2) | instid1(VALU_DEP_4)
	v_fmac_f32_e32 v43, 0x3f167918, v50
	v_fmac_f32_e32 v42, 0x3e9e377a, v47
	v_dual_add_f32 v47, v44, v79 :: v_dual_sub_f32 v44, v75, v74
	v_fmac_f32_e32 v45, 0x3e9e377a, v46
	s_delay_alu instid0(VALU_DEP_4)
	v_fmac_f32_e32 v43, 0x3e9e377a, v46
	ds_store_b64 v255, v[12:13] offset:3600
	ds_store_b64 v255, v[16:17] offset:7200
	;; [unrolled: 1-line block ×4, first 2 shown]
	ds_store_2addr_b64 v255, v[4:5], v[39:40] offset1:90
	v_add_nc_u32_e32 v2, 0x2c00, v255
	v_add_f32_e32 v51, v44, v51
	v_fma_f32 v44, -0.5, v53, v9
	v_dual_sub_f32 v53, v75, v76 :: v_dual_add_f32 v52, v74, v79
	s_delay_alu instid0(VALU_DEP_1) | instskip(NEXT) | instid1(VALU_DEP_1)
	v_fma_f32 v8, -0.5, v52, v8
	v_dual_add_f32 v52, v9, v77 :: v_dual_fmamk_f32 v49, v50, 0x3f737871, v8
	v_fmac_f32_e32 v8, 0xbf737871, v50
	s_delay_alu instid0(VALU_DEP_2) | instskip(NEXT) | instid1(VALU_DEP_3)
	v_add_f32_e32 v50, v52, v78
	v_dual_sub_f32 v52, v74, v79 :: v_dual_fmac_f32 v49, 0xbf167918, v48
	s_delay_alu instid0(VALU_DEP_3) | instskip(NEXT) | instid1(VALU_DEP_2)
	v_fmac_f32_e32 v8, 0x3f167918, v48
	v_fmac_f32_e32 v49, 0x3e9e377a, v51
	s_delay_alu instid0(VALU_DEP_2) | instskip(NEXT) | instid1(VALU_DEP_1)
	v_dual_fmac_f32 v8, 0x3e9e377a, v51 :: v_dual_sub_f32 v51, v78, v77
	v_dual_add_f32 v55, v51, v55 :: v_dual_add_f32 v48, v50, v81
	v_fma_f32 v51, -0.5, v56, v10
	v_fma_f32 v10, -0.5, v60, v10
	v_add_f32_e32 v50, v77, v82
	v_sub_f32_e32 v56, v83, v89
	v_fmamk_f32 v46, v52, 0x3f737871, v44
	v_fmac_f32_e32 v44, 0xbf737871, v52
	v_add_f32_e32 v60, v11, v83
	v_fma_f32 v9, -0.5, v50, v9
	s_delay_alu instid0(VALU_DEP_4) | instskip(NEXT) | instid1(VALU_DEP_4)
	v_fmac_f32_e32 v46, 0x3f167918, v53
	v_fmac_f32_e32 v44, 0xbf167918, v53
	s_delay_alu instid0(VALU_DEP_3) | instskip(SKIP_3) | instid1(VALU_DEP_2)
	v_fmamk_f32 v50, v53, 0xbf737871, v9
	v_fmac_f32_e32 v9, 0x3f737871, v53
	v_fmamk_f32 v53, v56, 0xbf737871, v51
	v_fmac_f32_e32 v51, 0x3f737871, v56
	v_fmac_f32_e32 v53, 0xbf167918, v58
	s_delay_alu instid0(VALU_DEP_2) | instskip(SKIP_3) | instid1(VALU_DEP_4)
	v_dual_fmac_f32 v50, 0x3f167918, v52 :: v_dual_fmac_f32 v51, 0x3f167918, v58
	v_fmac_f32_e32 v46, 0x3e9e377a, v54
	v_fmac_f32_e32 v44, 0x3e9e377a, v54
	v_add_f32_e32 v54, v57, v84
	v_dual_fmac_f32 v50, 0x3e9e377a, v55 :: v_dual_sub_f32 v57, v80, v84
	s_delay_alu instid0(VALU_DEP_2) | instskip(NEXT) | instid1(VALU_DEP_2)
	v_dual_fmac_f32 v9, 0xbf167918, v52 :: v_dual_add_f32 v52, v54, v85
	v_add_f32_e32 v54, v57, v59
	s_delay_alu instid0(VALU_DEP_2) | instskip(SKIP_1) | instid1(VALU_DEP_4)
	v_fmac_f32_e32 v9, 0x3e9e377a, v55
	v_fmamk_f32 v57, v58, 0x3f737871, v10
	v_add_f32_e32 v55, v52, v86
	v_dual_sub_f32 v52, v84, v80 :: v_dual_sub_f32 v59, v85, v86
	v_fmac_f32_e32 v10, 0xbf737871, v58
	v_add_f32_e32 v58, v60, v87
	v_dual_add_f32 v48, v48, v82 :: v_dual_fmac_f32 v57, 0xbf167918, v56
	s_delay_alu instid0(VALU_DEP_3) | instskip(NEXT) | instid1(VALU_DEP_3)
	v_dual_add_f32 v59, v52, v59 :: v_dual_fmac_f32 v10, 0x3f167918, v56
	v_add_f32_e32 v56, v58, v88
	v_add_f32_e32 v58, v83, v89
	v_fma_f32 v52, -0.5, v61, v11
	s_delay_alu instid0(VALU_DEP_4) | instskip(SKIP_1) | instid1(VALU_DEP_4)
	v_fmac_f32_e32 v57, 0x3e9e377a, v59
	v_dual_sub_f32 v61, v84, v85 :: v_dual_fmac_f32 v10, 0x3e9e377a, v59
	v_fmac_f32_e32 v11, -0.5, v58
	v_sub_f32_e32 v59, v87, v83
	v_fmac_f32_e32 v53, 0x3e9e377a, v54
	v_fmac_f32_e32 v51, 0x3e9e377a, v54
	s_delay_alu instid0(VALU_DEP_3) | instskip(SKIP_2) | instid1(VALU_DEP_2)
	v_dual_fmamk_f32 v58, v61, 0xbf737871, v11 :: v_dual_add_f32 v63, v59, v63
	v_dual_sub_f32 v60, v80, v86 :: v_dual_fmac_f32 v11, 0x3f737871, v61
	v_fma_f32 v59, -0.5, v64, v0
	v_fmac_f32_e32 v11, 0xbf167918, v60
	s_delay_alu instid0(VALU_DEP_1) | instskip(SKIP_3) | instid1(VALU_DEP_3)
	v_fmac_f32_e32 v11, 0x3e9e377a, v63
	v_fmamk_f32 v54, v60, 0x3f737871, v52
	v_fmac_f32_e32 v52, 0xbf737871, v60
	v_fmac_f32_e32 v58, 0x3f167918, v60
	;; [unrolled: 1-line block ×3, first 2 shown]
	s_delay_alu instid0(VALU_DEP_3)
	v_dual_fmac_f32 v52, 0xbf167918, v61 :: v_dual_add_f32 v61, v0, v31
	v_fma_f32 v0, -0.5, v67, v0
	v_sub_f32_e32 v67, v33, v90
	v_sub_f32_e32 v31, v31, v90
	;; [unrolled: 1-line block ×3, first 2 shown]
	v_fmac_f32_e32 v52, 0x3e9e377a, v62
	v_add_f32_e32 v60, v61, v30
	v_dual_add_f32 v66, v66, v67 :: v_dual_add_f32 v67, v28, v34
	v_fmac_f32_e32 v54, 0x3e9e377a, v62
	v_fmamk_f32 v61, v64, 0xbf737871, v59
	v_dual_fmac_f32 v59, 0x3f737871, v64 :: v_dual_sub_f32 v30, v30, v33
	v_sub_f32_e32 v62, v29, v32
	v_add_f32_e32 v60, v60, v33
	v_fmac_f32_e32 v58, 0x3e9e377a, v63
	s_delay_alu instid0(VALU_DEP_3) | instskip(SKIP_1) | instid1(VALU_DEP_4)
	v_fmac_f32_e32 v61, 0xbf167918, v62
	v_dual_fmac_f32 v59, 0x3f167918, v62 :: v_dual_add_f32 v56, v56, v89
	v_dual_add_f32 v63, v60, v90 :: v_dual_add_f32 v60, v29, v32
	s_delay_alu instid0(VALU_DEP_3) | instskip(NEXT) | instid1(VALU_DEP_3)
	v_fmac_f32_e32 v61, 0x3e9e377a, v65
	v_fmac_f32_e32 v59, 0x3e9e377a, v65
	v_fmamk_f32 v65, v62, 0x3f737871, v0
	v_fmac_f32_e32 v0, 0xbf737871, v62
	v_add_f32_e32 v62, v1, v28
	v_fma_f32 v60, -0.5, v60, v1
	v_fmac_f32_e32 v1, -0.5, v67
	v_fmac_f32_e32 v65, 0xbf167918, v64
	v_fmac_f32_e32 v0, 0x3f167918, v64
	v_add_f32_e32 v64, v62, v29
	v_dual_fmamk_f32 v62, v31, 0x3f737871, v60 :: v_dual_sub_f32 v67, v34, v32
	s_delay_alu instid0(VALU_DEP_4) | instskip(NEXT) | instid1(VALU_DEP_3)
	v_fmac_f32_e32 v65, 0x3e9e377a, v66
	v_dual_fmac_f32 v0, 0x3e9e377a, v66 :: v_dual_add_f32 v33, v64, v32
	v_sub_f32_e32 v64, v28, v29
	v_fmamk_f32 v66, v30, 0xbf737871, v1
	v_dual_sub_f32 v28, v29, v28 :: v_dual_sub_f32 v29, v32, v34
	v_fmac_f32_e32 v1, 0x3f737871, v30
	v_fmac_f32_e32 v60, 0xbf737871, v31
	;; [unrolled: 1-line block ×3, first 2 shown]
	v_add_f32_e32 v32, v64, v67
	s_delay_alu instid0(VALU_DEP_4) | instskip(NEXT) | instid1(VALU_DEP_4)
	v_dual_add_f32 v28, v28, v29 :: v_dual_fmac_f32 v1, 0xbf167918, v31
	v_fmac_f32_e32 v60, 0xbf167918, v30
	v_fmac_f32_e32 v66, 0x3f167918, v31
	v_add_f32_e32 v64, v33, v34
	v_fmac_f32_e32 v62, 0x3e9e377a, v32
	v_fmac_f32_e32 v1, 0x3e9e377a, v28
	;; [unrolled: 1-line block ×4, first 2 shown]
	ds_store_b64 v255, v[41:42] offset:7920
	ds_store_b64 v255, v[6:7] offset:11520
	;; [unrolled: 1-line block ×3, first 2 shown]
	ds_store_2addr_b64 v25, v[37:38], v[45:46] offset0:28 offset1:118
	ds_store_2addr_b64 v26, v[47:48], v[55:56] offset0:52 offset1:142
	;; [unrolled: 1-line block ×6, first 2 shown]
	ds_store_b64 v255, v[63:64] offset:2880
	ds_store_b64 v255, v[65:66] offset:10080
	;; [unrolled: 1-line block ×4, first 2 shown]
	global_wb scope:SCOPE_SE
	s_wait_dscnt 0x0
	s_barrier_signal -1
	s_barrier_wait -1
	global_inv scope:SCOPE_SE
	ds_load_2addr_b64 v[0:3], v255 offset1:90
	ds_load_2addr_b64 v[4:7], v26 offset0:97 offset1:187
	ds_load_2addr_b64 v[8:11], v20 offset0:66 offset1:156
	;; [unrolled: 1-line block ×3, first 2 shown]
	scratch_load_b64 v[27:28], off, off offset:136 th:TH_LOAD_LU ; 8-byte Folded Reload
	s_wait_dscnt 0x3
	v_mul_f32_e32 v16, v252, v1
	s_wait_dscnt 0x2
	v_dual_mul_f32 v20, v254, v5 :: v_dual_mul_f32 v17, v252, v0
	s_delay_alu instid0(VALU_DEP_2) | instskip(NEXT) | instid1(VALU_DEP_2)
	v_fmac_f32_e32 v16, v251, v0
	v_fmac_f32_e32 v20, v253, v4
	v_mul_f32_e32 v4, v254, v4
	s_delay_alu instid0(VALU_DEP_4) | instskip(NEXT) | instid1(VALU_DEP_4)
	v_fma_f32 v17, v251, v1, -v17
	v_cvt_f64_f32_e32 v[0:1], v16
	s_delay_alu instid0(VALU_DEP_4) | instskip(SKIP_4) | instid1(VALU_DEP_3)
	v_cvt_f64_f32_e32 v[37:38], v20
	s_wait_dscnt 0x0
	v_mul_f32_e32 v20, v217, v13
	v_fma_f32 v4, v253, v5, -v4
	v_cvt_f64_f32_e32 v[16:17], v17
	v_fmac_f32_e32 v20, v216, v12
	s_delay_alu instid0(VALU_DEP_3) | instskip(SKIP_4) | instid1(VALU_DEP_4)
	v_cvt_f64_f32_e32 v[4:5], v4
	s_wait_alu 0xfffe
	v_mul_f64_e32 v[0:1], s[2:3], v[0:1]
	v_mul_f64_e32 v[47:48], s[2:3], v[37:38]
	;; [unrolled: 1-line block ×4, first 2 shown]
	s_delay_alu instid0(VALU_DEP_4) | instskip(NEXT) | instid1(VALU_DEP_3)
	v_cvt_f32_f64_e32 v0, v[0:1]
	v_cvt_f32_f64_e32 v1, v[16:17]
	s_wait_loadcnt 0x0
	v_mul_f32_e32 v25, v28, v9
	v_mul_f32_e32 v26, v28, v8
	s_delay_alu instid0(VALU_DEP_2) | instskip(NEXT) | instid1(VALU_DEP_2)
	v_fmac_f32_e32 v25, v27, v8
	v_fma_f32 v26, v27, v9, -v26
	v_mul_f32_e32 v27, v217, v12
	s_delay_alu instid0(VALU_DEP_3) | instskip(NEXT) | instid1(VALU_DEP_3)
	v_cvt_f64_f32_e32 v[8:9], v25
	v_cvt_f64_f32_e32 v[39:40], v26
	s_delay_alu instid0(VALU_DEP_3) | instskip(SKIP_1) | instid1(VALU_DEP_2)
	v_fma_f32 v25, v216, v13, -v27
	v_cvt_f64_f32_e32 v[12:13], v20
	v_cvt_f64_f32_e32 v[41:42], v25
	scratch_load_b64 v[25:26], off, off offset:72 th:TH_LOAD_LU ; 8-byte Folded Reload
	v_mul_f64_e32 v[8:9], s[2:3], v[8:9]
	v_mul_f64_e32 v[49:50], s[2:3], v[39:40]
	;; [unrolled: 1-line block ×4, first 2 shown]
	s_wait_loadcnt 0x0
	v_mov_b32_e32 v29, v25
	ds_load_2addr_b64 v[25:28], v23 offset0:132 offset1:222
	v_mad_co_u64_u32 v[43:44], null, s6, v29, 0
	s_delay_alu instid0(VALU_DEP_1) | instskip(NEXT) | instid1(VALU_DEP_1)
	v_mov_b32_e32 v20, v44
	v_mad_co_u64_u32 v[44:45], null, s7, v29, v[20:21]
	ds_load_2addr_b64 v[29:32], v24 offset0:101 offset1:191
	ds_load_2addr_b64 v[33:36], v22 offset0:70 offset1:160
	s_clause 0x1
	scratch_load_b64 v[52:53], off, off offset:128 th:TH_LOAD_LU
	scratch_load_b64 v[56:57], off, off offset:120 th:TH_LOAD_LU
	v_mad_co_u64_u32 v[45:46], null, s4, v234, 0
	ds_load_2addr_b64 v[37:40], v19 offset0:8 offset1:98
	ds_load_2addr_b64 v[20:23], v21 offset0:39 offset1:129
	v_lshlrev_b64_e32 v[43:44], 3, v[43:44]
	s_mul_u64 s[6:7], s[4:5], 0xe1
	s_clause 0x1
	scratch_load_b64 v[63:64], off, off offset:104 th:TH_LOAD_LU
	scratch_load_b64 v[61:62], off, off offset:96 th:TH_LOAD_LU
	v_mov_b32_e32 v24, v46
	s_wait_alu 0xfffe
	s_lshl_b64 s[6:7], s[6:7], 3
	s_wait_loadcnt_dscnt 0x304
	v_mul_f32_e32 v46, v53, v26
	v_mul_f32_e32 v51, v53, v25
	s_wait_loadcnt_dscnt 0x203
	v_mul_f32_e32 v53, v57, v30
	v_mul_f32_e32 v54, v57, v29
	scratch_load_b64 v[57:58], off, off offset:112 th:TH_LOAD_LU ; 8-byte Folded Reload
	v_fmac_f32_e32 v46, v52, v25
	v_fma_f32 v19, v52, v26, -v51
	v_fmac_f32_e32 v53, v56, v29
	s_wait_loadcnt_dscnt 0x101
	v_mul_f32_e32 v59, v62, v38
	v_cvt_f64_f32_e32 v[25:26], v46
	v_cvt_f64_f32_e32 v[51:52], v19
	v_fma_f32 v19, v56, v30, -v54
	v_cvt_f64_f32_e32 v[29:30], v53
	s_wait_dscnt 0x0
	v_mul_f32_e32 v46, v64, v21
	v_mul_f32_e32 v60, v62, v37
	v_fmac_f32_e32 v59, v61, v37
	v_cvt_f64_f32_e32 v[53:54], v19
	s_delay_alu instid0(VALU_DEP_4) | instskip(SKIP_1) | instid1(VALU_DEP_1)
	v_fmac_f32_e32 v46, v63, v20
	v_mul_f32_e32 v20, v64, v20
	v_fma_f32 v21, v63, v21, -v20
	v_mul_f64_e32 v[29:30], s[2:3], v[29:30]
	s_wait_loadcnt 0x0
	v_mul_f32_e32 v55, v58, v34
	s_delay_alu instid0(VALU_DEP_1) | instskip(SKIP_1) | instid1(VALU_DEP_2)
	v_fmac_f32_e32 v55, v57, v33
	v_mul_f32_e32 v33, v58, v33
	v_cvt_f64_f32_e32 v[55:56], v55
	s_delay_alu instid0(VALU_DEP_2)
	v_fma_f32 v19, v57, v34, -v33
	v_cvt_f64_f32_e32 v[57:58], v46
	v_fma_f32 v46, v61, v38, -v60
	v_cvt_f64_f32_e32 v[37:38], v59
	v_add_co_u32 v61, s0, s8, v43
	v_cvt_f64_f32_e32 v[33:34], v19
	v_mad_co_u64_u32 v[19:20], null, s5, v234, v[24:25]
	v_cvt_f64_f32_e32 v[59:60], v46
	s_wait_alu 0xf1ff
	v_add_co_ci_u32_e64 v62, s0, s9, v44, s0
	v_cvt_f64_f32_e32 v[20:21], v21
	s_delay_alu instid0(VALU_DEP_4)
	v_mov_b32_e32 v46, v19
	ds_load_2addr_b64 v[16:19], v18 offset0:105 offset1:195
	v_lshlrev_b64_e32 v[43:44], 3, v[45:46]
	v_cvt_f32_f64_e32 v46, v[4:5]
	v_cvt_f32_f64_e32 v4, v[8:9]
	;; [unrolled: 1-line block ×4, first 2 shown]
	v_mul_f64_e32 v[12:13], s[2:3], v[25:26]
	v_add_co_u32 v41, s0, v61, v43
	v_mul_f64_e32 v[24:25], s[2:3], v[51:52]
	s_wait_alu 0xf1ff
	v_add_co_ci_u32_e64 v42, s0, v62, v44, s0
	v_mul_f64_e32 v[43:44], s[2:3], v[53:54]
	scratch_load_b64 v[52:53], off, off offset:88 th:TH_LOAD_LU ; 8-byte Folded Reload
	v_cvt_f32_f64_e32 v45, v[47:48]
	v_cvt_f32_f64_e32 v5, v[49:50]
	v_mul_f64_e32 v[47:48], s[2:3], v[55:56]
	s_wait_alu 0xfffe
	v_add_co_u32 v55, s0, v41, s6
	v_mul_f64_e32 v[49:50], s[2:3], v[57:58]
	s_wait_alu 0xf1ff
	v_add_co_ci_u32_e64 v56, s0, s7, v42, s0
	s_delay_alu instid0(VALU_DEP_3) | instskip(SKIP_2) | instid1(VALU_DEP_3)
	v_add_co_u32 v57, s0, v55, s6
	v_mul_f64_e32 v[33:34], s[2:3], v[33:34]
	s_wait_alu 0xf1ff
	v_add_co_ci_u32_e64 v58, s0, s7, v56, s0
	s_wait_loadcnt_dscnt 0x0
	v_mul_f32_e32 v26, v53, v17
	v_mul_f32_e32 v51, v53, v16
	s_delay_alu instid0(VALU_DEP_2) | instskip(NEXT) | instid1(VALU_DEP_2)
	v_fmac_f32_e32 v26, v52, v16
	v_fma_f32 v53, v52, v17, -v51
	v_mul_f64_e32 v[16:17], s[2:3], v[20:21]
	v_mul_f64_e32 v[20:21], s[2:3], v[37:38]
	;; [unrolled: 1-line block ×3, first 2 shown]
	v_cvt_f64_f32_e32 v[51:52], v26
	v_add_co_u32 v59, s0, v57, s6
	s_wait_alu 0xf1ff
	v_add_co_ci_u32_e64 v60, s0, s7, v58, s0
	s_clause 0x3
	global_store_b64 v[41:42], v[0:1], off
	global_store_b64 v[55:56], v[45:46], off
	;; [unrolled: 1-line block ×4, first 2 shown]
	v_cvt_f32_f64_e32 v8, v[29:30]
	v_cvt_f32_f64_e32 v9, v[43:44]
	;; [unrolled: 1-line block ×3, first 2 shown]
	scratch_load_b64 v[42:43], off, off offset:32 th:TH_LOAD_LU ; 8-byte Folded Reload
	v_cvt_f32_f64_e32 v1, v[24:25]
	v_cvt_f32_f64_e32 v24, v[47:48]
	scratch_load_b64 v[48:49], off, off offset:8 th:TH_LOAD_LU ; 8-byte Folded Reload
	v_cvt_f64_f32_e32 v[53:54], v53
	s_clause 0x1
	scratch_load_b64 v[44:45], off, off offset:40 th:TH_LOAD_LU
	scratch_load_b64 v[61:62], off, off offset:56 th:TH_LOAD_LU
	v_add_co_u32 v4, s0, v59, s6
	v_cvt_f32_f64_e32 v25, v[33:34]
	scratch_load_b64 v[58:59], off, off th:TH_LOAD_LU ; 8-byte Folded Reload
	s_wait_alu 0xf1ff
	v_add_co_ci_u32_e64 v5, s0, s7, v60, s0
	v_cvt_f32_f64_e32 v0, v[12:13]
	v_add_co_u32 v12, s0, v4, s6
	s_wait_alu 0xf1ff
	s_delay_alu instid0(VALU_DEP_3)
	v_add_co_ci_u32_e64 v13, s0, s7, v5, s0
	v_cvt_f32_f64_e32 v30, v[16:17]
	v_cvt_f32_f64_e32 v16, v[20:21]
	;; [unrolled: 1-line block ×3, first 2 shown]
	v_mul_f64_e32 v[20:21], s[2:3], v[51:52]
	scratch_load_b64 v[50:51], off, off offset:16 th:TH_LOAD_LU ; 8-byte Folded Reload
	v_mul_f64_e32 v[33:34], s[2:3], v[53:54]
	scratch_load_b64 v[54:55], off, off offset:64 th:TH_LOAD_LU ; 8-byte Folded Reload
	global_store_b64 v[4:5], v[0:1], off
	s_wait_loadcnt 0x6
	v_mul_f32_e32 v38, v43, v7
	v_mul_f32_e32 v41, v43, v6
	s_delay_alu instid0(VALU_DEP_2) | instskip(NEXT) | instid1(VALU_DEP_2)
	v_fmac_f32_e32 v38, v42, v6
	v_fma_f32 v41, v42, v7, -v41
	s_delay_alu instid0(VALU_DEP_1) | instskip(SKIP_2) | instid1(VALU_DEP_1)
	v_cvt_f64_f32_e32 v[41:42], v41
	s_wait_loadcnt 0x1
	v_mul_f32_e32 v43, v51, v11
	v_fmac_f32_e32 v43, v50, v10
	v_mul_f32_e32 v10, v51, v10
	scratch_load_b64 v[51:52], off, off offset:80 th:TH_LOAD_LU ; 8-byte Folded Reload
	v_fma_f32 v10, v50, v11, -v10
	s_delay_alu instid0(VALU_DEP_1) | instskip(NEXT) | instid1(VALU_DEP_1)
	v_cvt_f64_f32_e32 v[10:11], v10
	v_mul_f64_e32 v[10:11], s[2:3], v[10:11]
	s_wait_loadcnt 0x0
	v_mul_f32_e32 v46, v52, v28
	v_mul_f32_e32 v47, v52, v27
	scratch_load_b64 v[52:53], off, off offset:24 th:TH_LOAD_LU ; 8-byte Folded Reload
	v_mul_f32_e32 v26, v45, v3
	v_mul_f32_e32 v37, v45, v2
	;; [unrolled: 1-line block ×3, first 2 shown]
	v_fma_f32 v28, v51, v28, -v47
	v_fmac_f32_e32 v46, v51, v27
	v_fmac_f32_e32 v26, v44, v2
	v_fma_f32 v37, v44, v3, -v37
	v_fma_f32 v45, v48, v15, -v45
	v_cvt_f64_f32_e32 v[43:44], v43
	s_delay_alu instid0(VALU_DEP_4) | instskip(SKIP_3) | instid1(VALU_DEP_3)
	v_cvt_f64_f32_e32 v[2:3], v26
	v_mul_f32_e32 v26, v49, v15
	v_cvt_f64_f32_e32 v[6:7], v37
	v_cvt_f64_f32_e32 v[37:38], v38
	v_fmac_f32_e32 v26, v48, v14
	v_cvt_f64_f32_e32 v[47:48], v28
	s_delay_alu instid0(VALU_DEP_2)
	v_cvt_f64_f32_e32 v[14:15], v26
	v_cvt_f64_f32_e32 v[26:27], v45
	;; [unrolled: 1-line block ×3, first 2 shown]
	v_mul_f64_e32 v[2:3], s[2:3], v[2:3]
	v_mul_f64_e32 v[6:7], s[2:3], v[6:7]
	;; [unrolled: 1-line block ×4, first 2 shown]
	s_delay_alu instid0(VALU_DEP_4) | instskip(NEXT) | instid1(VALU_DEP_4)
	v_cvt_f32_f64_e32 v2, v[2:3]
	v_cvt_f32_f64_e32 v3, v[6:7]
	s_delay_alu instid0(VALU_DEP_4) | instskip(NEXT) | instid1(VALU_DEP_4)
	v_cvt_f32_f64_e32 v4, v[4:5]
	v_cvt_f32_f64_e32 v5, v[37:38]
	s_wait_loadcnt 0x0
	v_mul_f32_e32 v28, v53, v32
	v_mul_f32_e32 v49, v53, v31
	;; [unrolled: 1-line block ×3, first 2 shown]
	s_delay_alu instid0(VALU_DEP_3) | instskip(NEXT) | instid1(VALU_DEP_3)
	v_fmac_f32_e32 v28, v52, v31
	v_fma_f32 v49, v52, v32, -v49
	s_delay_alu instid0(VALU_DEP_3)
	v_fmac_f32_e32 v53, v58, v22
	v_mul_f32_e32 v22, v59, v22
	scratch_load_b64 v[59:60], off, off offset:48 th:TH_LOAD_LU ; 8-byte Folded Reload
	v_mul_f32_e32 v50, v55, v36
	v_mul_f32_e32 v51, v55, v35
	v_cvt_f64_f32_e32 v[31:32], v28
	v_mul_f32_e32 v28, v62, v40
	v_mul_f32_e32 v55, v62, v39
	v_fmac_f32_e32 v50, v54, v35
	v_fma_f32 v51, v54, v36, -v51
	v_fma_f32 v22, v58, v23, -v22
	v_fmac_f32_e32 v28, v61, v39
	v_fma_f32 v39, v61, v40, -v55
	v_cvt_f64_f32_e32 v[35:36], v49
	v_cvt_f64_f32_e32 v[49:50], v50
	v_cvt_f64_f32_e32 v[51:52], v51
	v_cvt_f64_f32_e32 v[53:54], v53
	v_cvt_f64_f32_e32 v[39:40], v39
	s_delay_alu instid0(VALU_DEP_1) | instskip(SKIP_3) | instid1(VALU_DEP_2)
	v_mul_f64_e32 v[39:40], s[2:3], v[39:40]
	s_wait_loadcnt 0x0
	v_mul_f32_e32 v56, v60, v19
	v_mul_f32_e32 v57, v60, v18
	v_fmac_f32_e32 v56, v59, v18
	s_delay_alu instid0(VALU_DEP_2)
	v_fma_f32 v57, v59, v19, -v57
	v_cvt_f64_f32_e32 v[18:19], v22
	v_cvt_f64_f32_e32 v[22:23], v28
	v_add_co_u32 v59, s0, v12, s6
	v_cvt_f64_f32_e32 v[55:56], v56
	v_cvt_f64_f32_e32 v[57:58], v57
	s_wait_alu 0xf1ff
	v_add_co_ci_u32_e64 v60, s0, s7, v13, s0
	v_add_co_u32 v61, s0, v59, s6
	s_wait_alu 0xf1ff
	s_delay_alu instid0(VALU_DEP_2) | instskip(NEXT) | instid1(VALU_DEP_2)
	v_add_co_ci_u32_e64 v62, s0, s7, v60, s0
	v_add_co_u32 v0, s0, v61, s6
	s_wait_alu 0xf1ff
	s_delay_alu instid0(VALU_DEP_2)
	v_add_co_ci_u32_e64 v1, s0, s7, v62, s0
	global_store_b64 v[12:13], v[8:9], off
	global_store_b64 v[59:60], v[24:25], off
	;; [unrolled: 1-line block ×4, first 2 shown]
	v_mul_f64_e32 v[8:9], s[2:3], v[43:44]
	v_mul_f64_e32 v[12:13], s[2:3], v[14:15]
	;; [unrolled: 1-line block ×3, first 2 shown]
	v_cvt_f32_f64_e32 v16, v[20:21]
	v_mul_f64_e32 v[20:21], s[2:3], v[45:46]
	v_mul_f64_e32 v[24:25], s[2:3], v[47:48]
	;; [unrolled: 1-line block ×4, first 2 shown]
	v_cvt_f32_f64_e32 v17, v[33:34]
	v_mul_f64_e32 v[30:31], s[2:3], v[49:50]
	v_mul_f64_e32 v[32:33], s[2:3], v[51:52]
	v_mul_f64_e32 v[34:35], s[2:3], v[53:54]
	v_add_co_u32 v0, s0, v0, s6
	s_wait_alu 0xf1ff
	v_add_co_ci_u32_e64 v1, s0, s7, v1, s0
	s_movk_i32 s0, 0xf871
	s_mov_b32 s1, -1
	v_mul_f64_e32 v[18:19], s[2:3], v[18:19]
	v_mul_f64_e32 v[22:23], s[2:3], v[22:23]
	s_wait_alu 0xfffe
	s_mul_u64 s[0:1], s[4:5], s[0:1]
	v_mul_f64_e32 v[41:42], s[2:3], v[55:56]
	v_mul_f64_e32 v[43:44], s[2:3], v[57:58]
	s_wait_alu 0xfffe
	s_lshl_b64 s[4:5], s[0:1], 3
	s_wait_alu 0xfffe
	v_add_co_u32 v6, s0, v0, s4
	s_wait_alu 0xf1ff
	v_add_co_ci_u32_e64 v7, s0, s5, v1, s0
	s_delay_alu instid0(VALU_DEP_2) | instskip(SKIP_1) | instid1(VALU_DEP_2)
	v_add_co_u32 v36, s0, v6, s6
	s_wait_alu 0xf1ff
	v_add_co_ci_u32_e64 v37, s0, s7, v7, s0
	v_cvt_f32_f64_e32 v8, v[8:9]
	v_cvt_f32_f64_e32 v9, v[10:11]
	;; [unrolled: 1-line block ×6, first 2 shown]
	v_add_co_u32 v12, s0, v36, s6
	s_wait_alu 0xf1ff
	v_add_co_ci_u32_e64 v13, s0, s7, v37, s0
	v_cvt_f32_f64_e32 v20, v[26:27]
	v_cvt_f32_f64_e32 v21, v[28:29]
	;; [unrolled: 1-line block ×4, first 2 shown]
	v_add_co_u32 v28, s0, v12, s6
	v_cvt_f32_f64_e32 v26, v[34:35]
	s_wait_alu 0xf1ff
	v_add_co_ci_u32_e64 v29, s0, s7, v13, s0
	v_cvt_f32_f64_e32 v27, v[18:19]
	v_cvt_f32_f64_e32 v18, v[22:23]
	;; [unrolled: 1-line block ×3, first 2 shown]
	global_store_b64 v[0:1], v[16:17], off
	v_cvt_f32_f64_e32 v22, v[41:42]
	v_cvt_f32_f64_e32 v23, v[43:44]
	v_add_co_u32 v0, s0, v28, s6
	s_wait_alu 0xf1ff
	v_add_co_ci_u32_e64 v1, s0, s7, v29, s0
	global_store_b64 v[6:7], v[2:3], off
	v_add_co_u32 v2, s0, v0, s6
	s_wait_alu 0xf1ff
	v_add_co_ci_u32_e64 v3, s0, s7, v1, s0
	global_store_b64 v[36:37], v[4:5], off
	;; [unrolled: 4-line block ×6, first 2 shown]
	global_store_b64 v[4:5], v[24:25], off
	global_store_b64 v[6:7], v[26:27], off
	;; [unrolled: 1-line block ×4, first 2 shown]
	s_and_b32 exec_lo, exec_lo, vcc_lo
	s_cbranch_execz .LBB0_31
; %bb.30:
	global_load_b64 v[6:7], v[214:215], off offset:1440
	v_add_nc_u32_e32 v2, 0x500, v255
	v_add_co_u32 v0, vcc_lo, v0, s4
	s_wait_alu 0xfffd
	v_add_co_ci_u32_e32 v1, vcc_lo, s5, v1, vcc_lo
	ds_load_2addr_b64 v[2:5], v2 offset0:20 offset1:245
	s_wait_loadcnt_dscnt 0x0
	v_mul_f32_e32 v8, v3, v7
	v_mul_f32_e32 v7, v2, v7
	s_delay_alu instid0(VALU_DEP_2) | instskip(NEXT) | instid1(VALU_DEP_2)
	v_fmac_f32_e32 v8, v2, v6
	v_fma_f32 v6, v6, v3, -v7
	s_delay_alu instid0(VALU_DEP_2) | instskip(NEXT) | instid1(VALU_DEP_2)
	v_cvt_f64_f32_e32 v[2:3], v8
	v_cvt_f64_f32_e32 v[6:7], v6
	s_delay_alu instid0(VALU_DEP_2) | instskip(NEXT) | instid1(VALU_DEP_2)
	v_mul_f64_e32 v[2:3], s[2:3], v[2:3]
	v_mul_f64_e32 v[6:7], s[2:3], v[6:7]
	s_delay_alu instid0(VALU_DEP_2) | instskip(NEXT) | instid1(VALU_DEP_2)
	v_cvt_f32_f64_e32 v2, v[2:3]
	v_cvt_f32_f64_e32 v3, v[6:7]
	global_store_b64 v[0:1], v[2:3], off
	global_load_b64 v[2:3], v[214:215], off offset:3240
	s_wait_loadcnt 0x0
	v_mul_f32_e32 v6, v5, v3
	v_mul_f32_e32 v3, v4, v3
	s_delay_alu instid0(VALU_DEP_2) | instskip(NEXT) | instid1(VALU_DEP_2)
	v_fmac_f32_e32 v6, v4, v2
	v_fma_f32 v4, v2, v5, -v3
	s_delay_alu instid0(VALU_DEP_2) | instskip(NEXT) | instid1(VALU_DEP_2)
	v_cvt_f64_f32_e32 v[2:3], v6
	v_cvt_f64_f32_e32 v[4:5], v4
	s_delay_alu instid0(VALU_DEP_2) | instskip(NEXT) | instid1(VALU_DEP_2)
	v_mul_f64_e32 v[2:3], s[2:3], v[2:3]
	v_mul_f64_e32 v[4:5], s[2:3], v[4:5]
	s_delay_alu instid0(VALU_DEP_2) | instskip(NEXT) | instid1(VALU_DEP_2)
	v_cvt_f32_f64_e32 v2, v[2:3]
	v_cvt_f32_f64_e32 v3, v[4:5]
	v_add_co_u32 v4, vcc_lo, v0, s6
	s_wait_alu 0xfffd
	v_add_co_ci_u32_e32 v5, vcc_lo, s7, v1, vcc_lo
	v_add_nc_u32_e32 v0, 0x1300, v255
	global_store_b64 v[4:5], v[2:3], off
	global_load_b64 v[6:7], v[214:215], off offset:5040
	ds_load_2addr_b64 v[0:3], v0 offset0:22 offset1:247
	v_add_co_u32 v4, vcc_lo, v4, s6
	s_wait_alu 0xfffd
	v_add_co_ci_u32_e32 v5, vcc_lo, s7, v5, vcc_lo
	s_wait_loadcnt_dscnt 0x0
	v_mul_f32_e32 v8, v1, v7
	v_mul_f32_e32 v7, v0, v7
	s_delay_alu instid0(VALU_DEP_2) | instskip(NEXT) | instid1(VALU_DEP_2)
	v_fmac_f32_e32 v8, v0, v6
	v_fma_f32 v6, v6, v1, -v7
	s_delay_alu instid0(VALU_DEP_2) | instskip(NEXT) | instid1(VALU_DEP_2)
	v_cvt_f64_f32_e32 v[0:1], v8
	v_cvt_f64_f32_e32 v[6:7], v6
	s_delay_alu instid0(VALU_DEP_2) | instskip(NEXT) | instid1(VALU_DEP_2)
	v_mul_f64_e32 v[0:1], s[2:3], v[0:1]
	v_mul_f64_e32 v[6:7], s[2:3], v[6:7]
	s_delay_alu instid0(VALU_DEP_2) | instskip(NEXT) | instid1(VALU_DEP_2)
	v_cvt_f32_f64_e32 v0, v[0:1]
	v_cvt_f32_f64_e32 v1, v[6:7]
	global_store_b64 v[4:5], v[0:1], off
	global_load_b64 v[0:1], v[214:215], off offset:6840
	v_add_co_u32 v4, vcc_lo, v4, s6
	s_wait_alu 0xfffd
	v_add_co_ci_u32_e32 v5, vcc_lo, s7, v5, vcc_lo
	s_wait_loadcnt 0x0
	v_mul_f32_e32 v6, v3, v1
	v_mul_f32_e32 v1, v2, v1
	s_delay_alu instid0(VALU_DEP_2) | instskip(NEXT) | instid1(VALU_DEP_2)
	v_fmac_f32_e32 v6, v2, v0
	v_fma_f32 v2, v0, v3, -v1
	s_delay_alu instid0(VALU_DEP_2) | instskip(NEXT) | instid1(VALU_DEP_2)
	v_cvt_f64_f32_e32 v[0:1], v6
	v_cvt_f64_f32_e32 v[2:3], v2
	s_delay_alu instid0(VALU_DEP_2) | instskip(NEXT) | instid1(VALU_DEP_2)
	v_mul_f64_e32 v[0:1], s[2:3], v[0:1]
	v_mul_f64_e32 v[2:3], s[2:3], v[2:3]
	s_delay_alu instid0(VALU_DEP_2) | instskip(NEXT) | instid1(VALU_DEP_2)
	v_cvt_f32_f64_e32 v0, v[0:1]
	v_cvt_f32_f64_e32 v1, v[2:3]
	global_store_b64 v[4:5], v[0:1], off
	global_load_b64 v[6:7], v[214:215], off offset:8640
	v_add_nc_u32_e32 v0, 0x2100, v255
	v_add_co_u32 v4, vcc_lo, v4, s6
	s_wait_alu 0xfffd
	v_add_co_ci_u32_e32 v5, vcc_lo, s7, v5, vcc_lo
	ds_load_2addr_b64 v[0:3], v0 offset0:24 offset1:249
	s_wait_loadcnt_dscnt 0x0
	v_mul_f32_e32 v8, v1, v7
	v_mul_f32_e32 v7, v0, v7
	s_delay_alu instid0(VALU_DEP_2) | instskip(NEXT) | instid1(VALU_DEP_2)
	v_fmac_f32_e32 v8, v0, v6
	v_fma_f32 v6, v6, v1, -v7
	s_delay_alu instid0(VALU_DEP_2) | instskip(NEXT) | instid1(VALU_DEP_2)
	v_cvt_f64_f32_e32 v[0:1], v8
	v_cvt_f64_f32_e32 v[6:7], v6
	s_delay_alu instid0(VALU_DEP_2) | instskip(NEXT) | instid1(VALU_DEP_2)
	v_mul_f64_e32 v[0:1], s[2:3], v[0:1]
	v_mul_f64_e32 v[6:7], s[2:3], v[6:7]
	s_delay_alu instid0(VALU_DEP_2) | instskip(NEXT) | instid1(VALU_DEP_2)
	v_cvt_f32_f64_e32 v0, v[0:1]
	v_cvt_f32_f64_e32 v1, v[6:7]
	global_store_b64 v[4:5], v[0:1], off
	global_load_b64 v[0:1], v[214:215], off offset:10440
	v_add_co_u32 v4, vcc_lo, v4, s6
	s_wait_alu 0xfffd
	v_add_co_ci_u32_e32 v5, vcc_lo, s7, v5, vcc_lo
	s_wait_loadcnt 0x0
	v_mul_f32_e32 v6, v3, v1
	v_mul_f32_e32 v1, v2, v1
	s_delay_alu instid0(VALU_DEP_2) | instskip(NEXT) | instid1(VALU_DEP_2)
	v_fmac_f32_e32 v6, v2, v0
	v_fma_f32 v2, v0, v3, -v1
	s_delay_alu instid0(VALU_DEP_2) | instskip(NEXT) | instid1(VALU_DEP_2)
	v_cvt_f64_f32_e32 v[0:1], v6
	v_cvt_f64_f32_e32 v[2:3], v2
	s_delay_alu instid0(VALU_DEP_2) | instskip(NEXT) | instid1(VALU_DEP_2)
	v_mul_f64_e32 v[0:1], s[2:3], v[0:1]
	v_mul_f64_e32 v[2:3], s[2:3], v[2:3]
	s_delay_alu instid0(VALU_DEP_2) | instskip(NEXT) | instid1(VALU_DEP_2)
	v_cvt_f32_f64_e32 v0, v[0:1]
	v_cvt_f32_f64_e32 v1, v[2:3]
	global_store_b64 v[4:5], v[0:1], off
	global_load_b64 v[6:7], v[214:215], off offset:12240
	v_add_nc_u32_e32 v0, 0x2f00, v255
	v_add_co_u32 v4, vcc_lo, v4, s6
	s_wait_alu 0xfffd
	v_add_co_ci_u32_e32 v5, vcc_lo, s7, v5, vcc_lo
	ds_load_2addr_b64 v[0:3], v0 offset0:26 offset1:251
	;; [unrolled: 42-line block ×3, first 2 shown]
	s_wait_loadcnt_dscnt 0x0
	v_mul_f32_e32 v8, v1, v7
	v_mul_f32_e32 v7, v0, v7
	s_delay_alu instid0(VALU_DEP_2) | instskip(NEXT) | instid1(VALU_DEP_2)
	v_fmac_f32_e32 v8, v0, v6
	v_fma_f32 v6, v6, v1, -v7
	s_delay_alu instid0(VALU_DEP_2) | instskip(NEXT) | instid1(VALU_DEP_2)
	v_cvt_f64_f32_e32 v[0:1], v8
	v_cvt_f64_f32_e32 v[6:7], v6
	s_delay_alu instid0(VALU_DEP_2) | instskip(NEXT) | instid1(VALU_DEP_2)
	v_mul_f64_e32 v[0:1], s[2:3], v[0:1]
	v_mul_f64_e32 v[6:7], s[2:3], v[6:7]
	s_delay_alu instid0(VALU_DEP_2) | instskip(NEXT) | instid1(VALU_DEP_2)
	v_cvt_f32_f64_e32 v0, v[0:1]
	v_cvt_f32_f64_e32 v1, v[6:7]
	global_store_b64 v[4:5], v[0:1], off
	global_load_b64 v[0:1], v[214:215], off offset:17640
	s_wait_loadcnt 0x0
	v_mul_f32_e32 v6, v3, v1
	v_mul_f32_e32 v1, v2, v1
	s_delay_alu instid0(VALU_DEP_2) | instskip(NEXT) | instid1(VALU_DEP_2)
	v_fmac_f32_e32 v6, v2, v0
	v_fma_f32 v2, v0, v3, -v1
	s_delay_alu instid0(VALU_DEP_2) | instskip(NEXT) | instid1(VALU_DEP_2)
	v_cvt_f64_f32_e32 v[0:1], v6
	v_cvt_f64_f32_e32 v[2:3], v2
	s_delay_alu instid0(VALU_DEP_2) | instskip(NEXT) | instid1(VALU_DEP_2)
	v_mul_f64_e32 v[0:1], s[2:3], v[0:1]
	v_mul_f64_e32 v[2:3], s[2:3], v[2:3]
	s_delay_alu instid0(VALU_DEP_2) | instskip(NEXT) | instid1(VALU_DEP_2)
	v_cvt_f32_f64_e32 v0, v[0:1]
	v_cvt_f32_f64_e32 v1, v[2:3]
	v_add_co_u32 v2, vcc_lo, v4, s6
	s_wait_alu 0xfffd
	v_add_co_ci_u32_e32 v3, vcc_lo, s7, v5, vcc_lo
	global_store_b64 v[2:3], v[0:1], off
.LBB0_31:
	s_nop 0
	s_sendmsg sendmsg(MSG_DEALLOC_VGPRS)
	s_endpgm
	.section	.rodata,"a",@progbits
	.p2align	6, 0x0
	.amdhsa_kernel bluestein_single_back_len2250_dim1_sp_op_CI_CI
		.amdhsa_group_segment_fixed_size 18000
		.amdhsa_private_segment_fixed_size 236
		.amdhsa_kernarg_size 104
		.amdhsa_user_sgpr_count 2
		.amdhsa_user_sgpr_dispatch_ptr 0
		.amdhsa_user_sgpr_queue_ptr 0
		.amdhsa_user_sgpr_kernarg_segment_ptr 1
		.amdhsa_user_sgpr_dispatch_id 0
		.amdhsa_user_sgpr_private_segment_size 0
		.amdhsa_wavefront_size32 1
		.amdhsa_uses_dynamic_stack 0
		.amdhsa_enable_private_segment 1
		.amdhsa_system_sgpr_workgroup_id_x 1
		.amdhsa_system_sgpr_workgroup_id_y 0
		.amdhsa_system_sgpr_workgroup_id_z 0
		.amdhsa_system_sgpr_workgroup_info 0
		.amdhsa_system_vgpr_workitem_id 0
		.amdhsa_next_free_vgpr 256
		.amdhsa_next_free_sgpr 18
		.amdhsa_reserve_vcc 1
		.amdhsa_float_round_mode_32 0
		.amdhsa_float_round_mode_16_64 0
		.amdhsa_float_denorm_mode_32 3
		.amdhsa_float_denorm_mode_16_64 3
		.amdhsa_fp16_overflow 0
		.amdhsa_workgroup_processor_mode 1
		.amdhsa_memory_ordered 1
		.amdhsa_forward_progress 0
		.amdhsa_round_robin_scheduling 0
		.amdhsa_exception_fp_ieee_invalid_op 0
		.amdhsa_exception_fp_denorm_src 0
		.amdhsa_exception_fp_ieee_div_zero 0
		.amdhsa_exception_fp_ieee_overflow 0
		.amdhsa_exception_fp_ieee_underflow 0
		.amdhsa_exception_fp_ieee_inexact 0
		.amdhsa_exception_int_div_zero 0
	.end_amdhsa_kernel
	.text
.Lfunc_end0:
	.size	bluestein_single_back_len2250_dim1_sp_op_CI_CI, .Lfunc_end0-bluestein_single_back_len2250_dim1_sp_op_CI_CI
                                        ; -- End function
	.section	.AMDGPU.csdata,"",@progbits
; Kernel info:
; codeLenInByte = 35024
; NumSgprs: 20
; NumVgprs: 256
; ScratchSize: 236
; MemoryBound: 0
; FloatMode: 240
; IeeeMode: 1
; LDSByteSize: 18000 bytes/workgroup (compile time only)
; SGPRBlocks: 2
; VGPRBlocks: 31
; NumSGPRsForWavesPerEU: 20
; NumVGPRsForWavesPerEU: 256
; Occupancy: 5
; WaveLimiterHint : 1
; COMPUTE_PGM_RSRC2:SCRATCH_EN: 1
; COMPUTE_PGM_RSRC2:USER_SGPR: 2
; COMPUTE_PGM_RSRC2:TRAP_HANDLER: 0
; COMPUTE_PGM_RSRC2:TGID_X_EN: 1
; COMPUTE_PGM_RSRC2:TGID_Y_EN: 0
; COMPUTE_PGM_RSRC2:TGID_Z_EN: 0
; COMPUTE_PGM_RSRC2:TIDIG_COMP_CNT: 0
	.text
	.p2alignl 7, 3214868480
	.fill 96, 4, 3214868480
	.type	__hip_cuid_b991a676cac14444,@object ; @__hip_cuid_b991a676cac14444
	.section	.bss,"aw",@nobits
	.globl	__hip_cuid_b991a676cac14444
__hip_cuid_b991a676cac14444:
	.byte	0                               ; 0x0
	.size	__hip_cuid_b991a676cac14444, 1

	.ident	"AMD clang version 19.0.0git (https://github.com/RadeonOpenCompute/llvm-project roc-6.4.0 25133 c7fe45cf4b819c5991fe208aaa96edf142730f1d)"
	.section	".note.GNU-stack","",@progbits
	.addrsig
	.addrsig_sym __hip_cuid_b991a676cac14444
	.amdgpu_metadata
---
amdhsa.kernels:
  - .args:
      - .actual_access:  read_only
        .address_space:  global
        .offset:         0
        .size:           8
        .value_kind:     global_buffer
      - .actual_access:  read_only
        .address_space:  global
        .offset:         8
        .size:           8
        .value_kind:     global_buffer
      - .actual_access:  read_only
        .address_space:  global
        .offset:         16
        .size:           8
        .value_kind:     global_buffer
      - .actual_access:  read_only
        .address_space:  global
        .offset:         24
        .size:           8
        .value_kind:     global_buffer
      - .actual_access:  read_only
        .address_space:  global
        .offset:         32
        .size:           8
        .value_kind:     global_buffer
      - .offset:         40
        .size:           8
        .value_kind:     by_value
      - .address_space:  global
        .offset:         48
        .size:           8
        .value_kind:     global_buffer
      - .address_space:  global
        .offset:         56
        .size:           8
        .value_kind:     global_buffer
      - .address_space:  global
        .offset:         64
        .size:           8
        .value_kind:     global_buffer
      - .address_space:  global
        .offset:         72
        .size:           8
        .value_kind:     global_buffer
      - .offset:         80
        .size:           4
        .value_kind:     by_value
      - .address_space:  global
        .offset:         88
        .size:           8
        .value_kind:     global_buffer
      - .address_space:  global
        .offset:         96
        .size:           8
        .value_kind:     global_buffer
    .group_segment_fixed_size: 18000
    .kernarg_segment_align: 8
    .kernarg_segment_size: 104
    .language:       OpenCL C
    .language_version:
      - 2
      - 0
    .max_flat_workgroup_size: 90
    .name:           bluestein_single_back_len2250_dim1_sp_op_CI_CI
    .private_segment_fixed_size: 236
    .sgpr_count:     20
    .sgpr_spill_count: 0
    .symbol:         bluestein_single_back_len2250_dim1_sp_op_CI_CI.kd
    .uniform_work_group_size: 1
    .uses_dynamic_stack: false
    .vgpr_count:     256
    .vgpr_spill_count: 58
    .wavefront_size: 32
    .workgroup_processor_mode: 1
amdhsa.target:   amdgcn-amd-amdhsa--gfx1201
amdhsa.version:
  - 1
  - 2
...

	.end_amdgpu_metadata
